;; amdgpu-corpus repo=ROCm/rocFFT kind=compiled arch=gfx950 opt=O3
	.text
	.amdgcn_target "amdgcn-amd-amdhsa--gfx950"
	.amdhsa_code_object_version 6
	.protected	bluestein_single_back_len150_dim1_sp_op_CI_CI ; -- Begin function bluestein_single_back_len150_dim1_sp_op_CI_CI
	.globl	bluestein_single_back_len150_dim1_sp_op_CI_CI
	.p2align	8
	.type	bluestein_single_back_len150_dim1_sp_op_CI_CI,@function
bluestein_single_back_len150_dim1_sp_op_CI_CI: ; @bluestein_single_back_len150_dim1_sp_op_CI_CI
; %bb.0:
	s_load_dwordx4 s[16:19], s[0:1], 0x28
	v_mul_u32_u24_e32 v1, 0x3334, v0
	v_lshrrev_b32_e32 v2, 16, v1
	v_mad_u64_u32 v[232:233], s[2:3], s2, 12, v[2:3]
	v_mov_b32_e32 v233, 0
	s_waitcnt lgkmcnt(0)
	v_cmp_gt_u64_e32 vcc, s[16:17], v[232:233]
	s_and_saveexec_b64 s[2:3], vcc
	s_cbranch_execz .LBB0_2
; %bb.1:
	s_load_dwordx4 s[4:7], s[0:1], 0x18
	s_load_dwordx4 s[8:11], s[0:1], 0x0
	v_mul_lo_u16_e32 v1, 5, v2
	v_sub_u16_e32 v142, v0, v1
	v_mov_b32_e32 v4, s18
	s_waitcnt lgkmcnt(0)
	s_load_dwordx4 s[12:15], s[4:5], 0x0
	v_mov_b32_e32 v5, s19
	v_mov_b32_e32 v217, 0x78
	v_lshlrev_b32_e32 v203, 3, v142
	global_load_dwordx2 v[158:159], v203, s[8:9]
	s_waitcnt lgkmcnt(0)
	v_mad_u64_u32 v[0:1], s[2:3], s14, v232, 0
	v_mov_b32_e32 v2, v1
	v_mad_u64_u32 v[2:3], s[2:3], s15, v232, v[2:3]
	v_mov_b32_e32 v1, v2
	v_mad_u64_u32 v[2:3], s[2:3], s12, v142, 0
	v_mov_b32_e32 v6, v3
	v_mad_u64_u32 v[6:7], s[2:3], s13, v142, v[6:7]
	v_mov_b32_e32 v3, v6
	v_lshl_add_u64 v[0:1], v[0:1], 3, v[4:5]
	v_lshl_add_u64 v[4:5], v[2:3], 3, v[0:1]
	global_load_dwordx2 v[2:3], v[4:5], off
	v_mad_u64_u32 v[4:5], s[2:3], s12, v217, v[4:5]
	s_mul_i32 s2, s13, 0x78
	s_nop 0
	v_add_u32_e32 v5, s2, v5
	global_load_dwordx2 v[156:157], v203, s[8:9] offset:120
	global_load_dwordx2 v[6:7], v[4:5], off
	v_mad_u64_u32 v[4:5], s[4:5], s12, v217, v[4:5]
	v_add_u32_e32 v5, s2, v5
	global_load_dwordx2 v[148:149], v203, s[8:9] offset:240
	global_load_dwordx2 v[12:13], v[4:5], off
	v_mad_u64_u32 v[4:5], s[4:5], s12, v217, v[4:5]
	v_add_u32_e32 v5, s2, v5
	global_load_dwordx2 v[146:147], v203, s[8:9] offset:360
	global_load_dwordx2 v[16:17], v[4:5], off
	global_load_dwordx2 v[140:141], v203, s[8:9] offset:480
	v_mad_u64_u32 v[4:5], s[4:5], s12, v217, v[4:5]
	v_add_u32_e32 v5, s2, v5
	global_load_dwordx2 v[8:9], v[4:5], off
	global_load_dwordx2 v[138:139], v203, s[8:9] offset:600
	v_mad_u64_u32 v[4:5], s[4:5], s12, v217, v[4:5]
	v_add_u32_e32 v5, s2, v5
	;; [unrolled: 4-line block ×3, first 2 shown]
	global_load_dwordx2 v[10:11], v[4:5], off
	s_mov_b32 s3, 0xaaaaaaab
	v_mul_hi_u32 v18, v232, s3
	v_lshrrev_b32_e32 v18, 3, v18
	v_mul_lo_u32 v18, v18, 12
	v_sub_u32_e32 v20, v232, v18
	v_mad_u64_u32 v[18:19], s[4:5], s12, v217, v[4:5]
	v_add_u32_e32 v19, s2, v19
	global_load_dwordx2 v[154:155], v203, s[8:9] offset:840
	global_load_dwordx2 v[4:5], v[18:19], off
	v_or_b32_e32 v24, 0x78, v142
	v_mul_u32_u24_e32 v20, 0x96, v20
	v_lshlrev_b32_e32 v74, 3, v20
	v_mad_u64_u32 v[20:21], s[14:15], s12, v24, 0
	v_mov_b32_e32 v22, v21
	v_mad_u64_u32 v[22:23], s[14:15], s13, v24, v[22:23]
	v_mov_b32_e32 v21, v22
	v_lshl_add_u64 v[20:21], v[20:21], 3, v[0:1]
	s_load_dwordx4 s[4:7], s[6:7], 0x0
	global_load_dwordx2 v[150:151], v203, s[8:9] offset:960
	global_load_dwordx2 v[152:153], v203, s[8:9] offset:40
	;; [unrolled: 1-line block ×8, first 2 shown]
	global_load_dwordx2 v[22:23], v[20:21], off
	v_add_u32_e32 v225, v203, v74
	s_mul_i32 s3, s13, 0xf0
	global_load_dwordx2 v[168:169], v203, s[8:9] offset:320
	s_add_u32 s18, s8, 0x4b0
	s_addc_u32 s19, s9, 0
	v_mov_b32_e32 v34, 0xf0
	v_accvgpr_write_b32 a0, v24
	v_mov_b32_e32 v30, 0xfffffbf0
	v_add_u32_e32 v207, 5, v142
	s_mov_b32 s22, 0xbf167918
	s_mov_b32 s20, 0xbf737871
	v_add_u32_e32 v209, 10, v142
	v_mov_b32_e32 v143, v233
	v_lshlrev_b32_e32 v213, 4, v142
	s_load_dwordx2 s[0:1], s[0:1], 0x38
	s_waitcnt vmcnt(24)
	v_mul_f32_e32 v20, v3, v159
	v_mul_f32_e32 v21, v2, v159
	v_fmac_f32_e32 v20, v2, v158
	v_fma_f32 v21, v3, v158, -v21
	s_waitcnt vmcnt(22)
	v_mul_f32_e32 v2, v7, v157
	v_mul_f32_e32 v3, v6, v157
	v_fmac_f32_e32 v2, v6, v156
	v_fma_f32 v3, v7, v156, -v3
	ds_write_b64 v225, v[2:3] offset:120
	s_waitcnt vmcnt(20)
	v_mul_f32_e32 v2, v13, v149
	v_mul_f32_e32 v3, v12, v149
	v_fmac_f32_e32 v2, v12, v148
	v_fma_f32 v3, v13, v148, -v3
	ds_write_b64 v225, v[2:3] offset:240
	v_mov_b32_e32 v2, 0xf0
	s_waitcnt vmcnt(18)
	v_mul_f32_e32 v6, v17, v147
	v_mad_u64_u32 v[12:13], s[14:15], s12, v2, v[18:19]
	v_mul_f32_e32 v7, v16, v147
	v_fmac_f32_e32 v6, v16, v146
	v_add_u32_e32 v13, s3, v13
	v_fma_f32 v7, v17, v146, -v7
	global_load_dwordx2 v[2:3], v[12:13], off
	global_load_dwordx2 v[194:195], v203, s[8:9] offset:1080
	ds_write_b64 v225, v[6:7] offset:360
	s_waitcnt vmcnt(18)
	v_mul_f32_e32 v6, v9, v141
	v_mul_f32_e32 v7, v8, v141
	v_fmac_f32_e32 v6, v8, v140
	v_fma_f32 v7, v9, v140, -v7
	global_load_dwordx2 v[182:183], v203, s[8:9] offset:520
	global_load_dwordx2 v[170:171], v203, s[8:9] offset:560
	ds_write_b64 v225, v[6:7] offset:480
	s_waitcnt vmcnt(18)
	v_mul_f32_e32 v6, v15, v139
	v_mul_f32_e32 v7, v14, v139
	v_fmac_f32_e32 v6, v14, v138
	v_fma_f32 v7, v15, v138, -v7
	ds_write_b64 v225, v[6:7] offset:600
	s_waitcnt vmcnt(16)
	v_mul_f32_e32 v6, v11, v223
	v_mul_f32_e32 v7, v10, v223
	v_fmac_f32_e32 v6, v10, v222
	v_fma_f32 v7, v11, v222, -v7
	global_load_dwordx2 v[188:189], v203, s[8:9] offset:640
	global_load_dwordx2 v[184:185], v203, s[8:9] offset:760
	;; [unrolled: 1-line block ×3, first 2 shown]
	ds_write_b64 v225, v[6:7] offset:720
	v_mov_b32_e32 v6, 0xfffffbf0
	v_mad_u64_u32 v[6:7], s[14:15], s12, v6, v[12:13]
	s_mul_i32 s14, s13, 0xfffffbf0
	s_sub_i32 s16, s14, s12
	v_add_u32_e32 v7, s16, v7
	global_load_dwordx2 v[8:9], v[6:7], off
	global_load_dwordx2 v[186:187], v203, s[8:9] offset:880
	global_load_dwordx2 v[174:175], v203, s[8:9] offset:920
	;; [unrolled: 1-line block ×3, first 2 shown]
	s_waitcnt vmcnt(21)
	v_mul_f32_e32 v10, v5, v155
	v_fmac_f32_e32 v10, v4, v154
	v_mul_f32_e32 v4, v4, v155
	v_fma_f32 v11, v5, v154, -v4
	v_or_b32_e32 v14, 0x50, v142
	ds_write_b64 v225, v[10:11] offset:840
	v_mad_u64_u32 v[10:11], s[14:15], s12, v14, 0
	v_mov_b32_e32 v12, v11
	v_mad_u64_u32 v[12:13], s[14:15], s13, v14, v[12:13]
	v_or_b32_e32 v16, 40, v142
	v_mad_u64_u32 v[4:5], s[14:15], s12, v217, v[6:7]
	v_mov_b32_e32 v11, v12
	v_mad_u64_u32 v[12:13], s[14:15], s12, v16, 0
	v_add_u32_e32 v5, s2, v5
	v_accvgpr_write_b32 a1, v14
	v_mov_b32_e32 v14, v13
	global_load_dwordx2 v[6:7], v[4:5], off
	v_mad_u64_u32 v[14:15], s[14:15], s13, v16, v[14:15]
	v_mad_u64_u32 v[4:5], s[14:15], s12, v217, v[4:5]
	v_lshl_add_u64 v[10:11], v[10:11], 3, v[0:1]
	v_mov_b32_e32 v13, v14
	v_add_u32_e32 v5, s2, v5
	global_load_dwordx2 v[192:193], v203, s[8:9] offset:1000
	v_lshl_add_u64 v[0:1], v[12:13], 3, v[0:1]
	global_load_dwordx2 v[12:13], v[10:11], off
	global_load_dwordx2 v[14:15], v[0:1], off
	global_load_dwordx2 v[180:181], v203, s[8:9] offset:1040
	v_mov_b32_e32 v220, v16
	global_load_dwordx2 v[10:11], v[4:5], off
	v_mad_u64_u32 v[4:5], s[14:15], s12, v217, v[4:5]
	v_add_u32_e32 v5, s2, v5
	global_load_dwordx2 v[16:17], v[4:5], off
	v_mad_u64_u32 v[4:5], s[14:15], s12, v217, v[4:5]
	v_add_u32_e32 v5, s2, v5
	global_load_dwordx2 v[18:19], v[4:5], off
	v_mad_u64_u32 v[4:5], s[14:15], s12, v34, v[4:5]
	s_waitcnt vmcnt(20)
	v_mul_f32_e32 v0, v23, v151
	v_mul_f32_e32 v1, v22, v151
	v_add_u32_e32 v5, s3, v5
	v_fmac_f32_e32 v0, v22, v150
	v_fma_f32 v1, v23, v150, -v1
	global_load_dwordx2 v[22:23], v[4:5], off
	v_mad_u64_u32 v[4:5], s[14:15], s12, v217, v[4:5]
	v_add_u32_e32 v5, s2, v5
	global_load_dwordx2 v[24:25], v[4:5], off
	v_mad_u64_u32 v[4:5], s[14:15], s12, v217, v[4:5]
	v_add_u32_e32 v5, s2, v5
	global_load_dwordx2 v[26:27], v[4:5], off
	v_mad_u64_u32 v[4:5], s[14:15], s12, v217, v[4:5]
	ds_write_b64 v225, v[0:1] offset:960
	v_add_u32_e32 v5, s2, v5
	global_load_dwordx2 v[28:29], v[4:5], off
	global_load_dwordx2 v[196:197], v203, s[8:9] offset:1120
	v_mad_u64_u32 v[4:5], s[14:15], s12, v30, v[4:5]
	v_add_u32_e32 v5, s16, v5
	global_load_dwordx2 v[30:31], v[4:5], off
	v_mad_u64_u32 v[4:5], s[14:15], s12, v217, v[4:5]
	v_add_u32_e32 v5, s2, v5
	global_load_dwordx2 v[32:33], v[4:5], off
	s_waitcnt vmcnt(24)
	v_mul_f32_e32 v0, v3, v195
	v_mul_f32_e32 v1, v2, v195
	v_fmac_f32_e32 v0, v2, v194
	v_fma_f32 v1, v3, v194, -v1
	v_mad_u64_u32 v[2:3], s[14:15], s12, v34, v[4:5]
	v_add_u32_e32 v3, s3, v3
	ds_write_b64 v225, v[0:1] offset:1080
	s_waitcnt vmcnt(18)
	v_mul_f32_e32 v0, v9, v153
	v_mul_f32_e32 v1, v8, v153
	global_load_dwordx2 v[4:5], v[2:3], off
	v_mad_u64_u32 v[2:3], s[14:15], s12, v217, v[2:3]
	v_fmac_f32_e32 v0, v8, v152
	v_fma_f32 v1, v9, v152, -v1
	v_add_u32_e32 v3, s2, v3
	global_load_dwordx2 v[8:9], v[2:3], off
	ds_write2_b64 v225, v[20:21], v[0:1] offset1:5
	v_mad_u64_u32 v[0:1], s[14:15], s12, v217, v[2:3]
	v_add_u32_e32 v1, s2, v1
	global_load_dwordx2 v[2:3], v[0:1], off
	v_mad_u64_u32 v[0:1], s[14:15], s12, v217, v[0:1]
	v_add_u32_e32 v1, s2, v1
	global_load_dwordx2 v[34:35], v[0:1], off
	;; [unrolled: 3-line block ×5, first 2 shown]
	global_load_dwordx2 v[190:191], v203, s[8:9] offset:1160
	s_waitcnt vmcnt(22)
	v_mul_f32_e32 v20, v7, v145
	v_fmac_f32_e32 v20, v6, v144
	v_mul_f32_e32 v6, v6, v145
	v_fma_f32 v21, v7, v144, -v6
	s_waitcnt vmcnt(17)
	v_mul_f32_e32 v0, v11, v163
	v_mul_f32_e32 v1, v10, v163
	v_fmac_f32_e32 v0, v10, v162
	v_fma_f32 v1, v11, v162, -v1
	s_waitcnt vmcnt(16)
	v_mul_f32_e32 v6, v17, v177
	v_fmac_f32_e32 v6, v16, v176
	v_mul_f32_e32 v7, v16, v177
	v_mul_f32_e32 v16, v13, v189
	v_fmac_f32_e32 v16, v12, v188
	v_mul_f32_e32 v12, v12, v189
	v_fma_f32 v7, v17, v176, -v7
	v_fma_f32 v17, v13, v188, -v12
	s_waitcnt vmcnt(15)
	v_mul_f32_e32 v10, v19, v183
	v_mul_f32_e32 v11, v18, v183
	v_fmac_f32_e32 v10, v18, v182
	v_fma_f32 v11, v19, v182, -v11
	s_waitcnt vmcnt(14)
	v_mul_f32_e32 v12, v23, v185
	v_mul_f32_e32 v13, v22, v185
	v_fmac_f32_e32 v12, v22, v184
	;; [unrolled: 5-line block ×4, first 2 shown]
	v_fma_f32 v23, v27, v192, -v23
	s_mov_b32 s2, 0x3f737871
	s_waitcnt vmcnt(10)
	v_mul_f32_e32 v24, v29, v197
	v_mul_f32_e32 v25, v28, v197
	v_fmac_f32_e32 v24, v28, v196
	v_fma_f32 v25, v29, v196, -v25
	s_waitcnt vmcnt(9)
	v_mul_f32_e32 v26, v31, v161
	v_mul_f32_e32 v27, v30, v161
	v_fmac_f32_e32 v26, v30, v160
	v_fma_f32 v27, v31, v160, -v27
	ds_write_b64 v225, v[26:27] offset:80
	s_waitcnt vmcnt(8)
	v_mul_f32_e32 v26, v33, v165
	v_mul_f32_e32 v27, v32, v165
	v_fmac_f32_e32 v26, v32, v164
	v_fma_f32 v27, v33, v164, -v27
	ds_write2_b64 v225, v[20:21], v[26:27] offset0:20 offset1:25
	v_mul_f32_e32 v20, v15, v169
	v_fmac_f32_e32 v20, v14, v168
	v_mul_f32_e32 v14, v14, v169
	v_fma_f32 v21, v15, v168, -v14
	ds_write2_b64 v225, v[0:1], v[20:21] offset0:35 offset1:40
	s_waitcnt vmcnt(7)
	v_mul_f32_e32 v0, v5, v167
	v_mul_f32_e32 v1, v4, v167
	v_fmac_f32_e32 v0, v4, v166
	v_fma_f32 v1, v5, v166, -v1
	ds_write2_b64 v225, v[6:7], v[0:1] offset0:50 offset1:55
	s_mov_b32 s12, 0x3f167918
	s_waitcnt vmcnt(6)
	v_mul_f32_e32 v0, v9, v171
	v_mul_f32_e32 v1, v8, v171
	v_fmac_f32_e32 v0, v8, v170
	v_fma_f32 v1, v9, v170, -v1
	ds_write2_b64 v225, v[10:11], v[0:1] offset0:65 offset1:70
	s_waitcnt vmcnt(5)
	v_mul_f32_e32 v0, v3, v173
	v_mul_f32_e32 v1, v2, v173
	v_fmac_f32_e32 v0, v2, v172
	v_fma_f32 v1, v3, v172, -v1
	ds_write2_b64 v225, v[16:17], v[0:1] offset0:80 offset1:85
	;; [unrolled: 6-line block ×6, first 2 shown]
	v_mul_lo_u16_e32 v0, 10, v142
	v_lshl_add_u32 v205, v0, 3, v74
	v_mul_u32_u24_e32 v0, 10, v207
	s_waitcnt lgkmcnt(0)
	; wave barrier
	s_waitcnt lgkmcnt(0)
	v_lshl_add_u32 v201, v0, 3, v74
	ds_read2_b64 v[70:73], v225 offset1:5
	ds_read2_b64 v[0:3], v225 offset0:20 offset1:25
	ds_read2_b64 v[62:65], v225 offset0:30 offset1:35
	;; [unrolled: 1-line block ×9, first 2 shown]
	s_waitcnt lgkmcnt(7)
	v_pk_add_f32 v[20:21], v[72:73], v[64:65]
	s_waitcnt lgkmcnt(3)
	v_pk_add_f32 v[22:23], v[68:69], v[40:41]
	v_pk_add_f32 v[20:21], v[20:21], v[68:69]
	v_pk_add_f32 v[32:33], v[68:69], v[40:41] neg_lo:[0,1] neg_hi:[0,1]
	v_pk_add_f32 v[20:21], v[20:21], v[40:41]
	s_waitcnt lgkmcnt(1)
	v_pk_add_f32 v[42:43], v[60:61], v[40:41] neg_lo:[0,1] neg_hi:[0,1]
	v_pk_add_f32 v[44:45], v[68:69], v[64:65] neg_lo:[0,1] neg_hi:[0,1]
	;; [unrolled: 1-line block ×4, first 2 shown]
	s_waitcnt lgkmcnt(0)
	v_pk_add_f32 v[48:49], v[4:5], v[16:17]
	v_pk_add_f32 v[24:25], v[64:65], v[60:61] neg_lo:[0,1] neg_hi:[0,1]
	v_pk_add_f32 v[40:41], v[44:45], v[40:41]
	v_pk_add_f32 v[44:45], v[4:5], v[16:17] neg_lo:[0,1] neg_hi:[0,1]
	v_pk_fma_f32 v[48:49], v[48:49], 0.5, v[0:1] op_sel_hi:[1,0,1] neg_lo:[1,0,0] neg_hi:[1,0,0]
	v_pk_mul_f32 v[50:51], v[46:47], s[2:3] op_sel_hi:[1,0]
	v_pk_add_f32 v[54:55], v[8:9], v[4:5] neg_lo:[0,1] neg_hi:[0,1]
	v_pk_add_f32 v[56:57], v[12:13], v[16:17] neg_lo:[0,1] neg_hi:[0,1]
	v_pk_fma_f32 v[22:23], v[22:23], 0.5, v[72:73] op_sel_hi:[1,0,1] neg_lo:[1,0,0] neg_hi:[1,0,0]
	v_pk_mul_f32 v[26:27], v[24:25], s[2:3] op_sel_hi:[1,0]
	v_pk_add_f32 v[36:37], v[64:65], v[68:69] neg_lo:[0,1] neg_hi:[0,1]
	v_pk_mul_f32 v[52:53], v[44:45], s[12:13] op_sel_hi:[1,0]
	v_pk_add_f32 v[54:55], v[54:55], v[56:57]
	v_pk_add_f32 v[56:57], v[48:49], v[50:51] op_sel:[0,1] op_sel_hi:[1,0] neg_lo:[0,1] neg_hi:[0,1]
	v_pk_add_f32 v[48:49], v[48:49], v[50:51] op_sel:[0,1] op_sel_hi:[1,0]
	v_pk_mul_f32 v[34:35], v[32:33], s[12:13] op_sel_hi:[1,0]
	v_pk_add_f32 v[36:37], v[36:37], v[42:43]
	v_pk_add_f32 v[42:43], v[22:23], v[26:27] op_sel:[0,1] op_sel_hi:[1,0]
	v_pk_add_f32 v[22:23], v[22:23], v[26:27] op_sel:[0,1] op_sel_hi:[1,0] neg_lo:[0,1] neg_hi:[0,1]
	v_pk_add_f32 v[48:49], v[48:49], v[52:53] op_sel:[0,1] op_sel_hi:[1,0] neg_lo:[0,1] neg_hi:[0,1]
	v_pk_add_f32 v[50:51], v[56:57], v[52:53] op_sel:[0,1] op_sel_hi:[1,0]
	s_mov_b32 s14, 0x3e9e377a
	v_pk_add_f32 v[22:23], v[22:23], v[34:35] op_sel:[0,1] op_sel_hi:[1,0] neg_lo:[0,1] neg_hi:[0,1]
	v_pk_add_f32 v[34:35], v[42:43], v[34:35] op_sel:[0,1] op_sel_hi:[1,0]
	v_mov_b32_e32 v52, v50
	v_mov_b32_e32 v53, v49
	;; [unrolled: 1-line block ×4, first 2 shown]
	v_pk_fma_f32 v[52:53], v[54:55], s[14:15], v[52:53] op_sel_hi:[1,0,1]
	v_pk_fma_f32 v[42:43], v[36:37], s[14:15], v[26:27] op_sel_hi:[1,0,1]
	v_pk_add_f32 v[26:27], v[64:65], v[60:61]
	v_pk_mul_f32 v[56:57], v[52:53], s[2:3] op_sel_hi:[1,0]
	v_pk_add_f32 v[28:29], v[20:21], v[60:61]
	v_pk_fma_f32 v[26:27], v[26:27], 0.5, v[72:73] op_sel_hi:[1,0,1] neg_lo:[1,0,0] neg_hi:[1,0,0]
	v_pk_fma_f32 v[60:61], v[52:53], s[14:15], v[56:57] op_sel:[0,0,1] op_sel_hi:[1,0,0]
	v_pk_fma_f32 v[52:53], v[52:53], s[14:15], v[56:57] op_sel:[0,0,1] op_sel_hi:[1,0,0] neg_lo:[0,0,1] neg_hi:[0,0,1]
	v_pk_mul_f32 v[32:33], v[32:33], s[2:3] op_sel_hi:[1,0]
	v_mov_b32_e32 v61, v53
	v_pk_mul_f32 v[24:25], v[24:25], s[12:13] op_sel_hi:[1,0]
	v_pk_add_f32 v[52:53], v[26:27], v[32:33] op_sel:[0,1] op_sel_hi:[1,0] neg_lo:[0,1] neg_hi:[0,1]
	v_pk_add_f32 v[26:27], v[26:27], v[32:33] op_sel:[0,1] op_sel_hi:[1,0]
	v_pk_add_f32 v[32:33], v[52:53], v[24:25] op_sel:[0,1] op_sel_hi:[1,0]
	v_pk_add_f32 v[26:27], v[26:27], v[24:25] op_sel:[0,1] op_sel_hi:[1,0] neg_lo:[0,1] neg_hi:[0,1]
	v_pk_add_f32 v[20:21], v[0:1], v[4:5]
	v_mov_b32_e32 v24, v32
	v_mov_b32_e32 v25, v27
	;; [unrolled: 1-line block ×3, first 2 shown]
	v_pk_add_f32 v[20:21], v[20:21], v[8:9]
	v_pk_fma_f32 v[52:53], v[40:41], s[14:15], v[24:25] op_sel_hi:[1,0,1]
	v_pk_fma_f32 v[32:33], v[40:41], s[14:15], v[26:27] op_sel_hi:[1,0,1]
	v_pk_add_f32 v[40:41], v[8:9], v[12:13]
	v_pk_add_f32 v[20:21], v[20:21], v[12:13]
	v_pk_fma_f32 v[0:1], v[40:41], 0.5, v[0:1] op_sel_hi:[1,0,1] neg_lo:[1,0,0] neg_hi:[1,0,0]
	v_pk_add_f32 v[4:5], v[4:5], v[8:9] neg_lo:[0,1] neg_hi:[0,1]
	v_pk_add_f32 v[8:9], v[16:17], v[12:13] neg_lo:[0,1] neg_hi:[0,1]
	v_mov_b32_e32 v23, v35
	v_pk_mul_f32 v[12:13], v[44:45], s[2:3] op_sel_hi:[1,0]
	v_pk_add_f32 v[30:31], v[20:21], v[16:17]
	v_pk_add_f32 v[4:5], v[4:5], v[8:9]
	v_pk_fma_f32 v[8:9], v[36:37], s[14:15], v[22:23] op_sel_hi:[1,0,1]
	v_pk_add_f32 v[16:17], v[0:1], v[12:13] op_sel:[0,1] op_sel_hi:[1,0]
	v_pk_mul_f32 v[22:23], v[46:47], s[12:13] op_sel_hi:[1,0]
	v_pk_add_f32 v[0:1], v[0:1], v[12:13] op_sel:[0,1] op_sel_hi:[1,0] neg_lo:[0,1] neg_hi:[0,1]
	v_pk_add_f32 v[16:17], v[22:23], v[16:17] op_sel:[1,0] op_sel_hi:[0,1]
	v_pk_add_f32 v[0:1], v[0:1], v[22:23] op_sel:[0,1] op_sel_hi:[1,0] neg_lo:[0,1] neg_hi:[0,1]
	s_mov_b32 s16, 0x3f4f1bbd
	v_pk_fma_f32 v[12:13], v[4:5], s[14:15], v[0:1] op_sel_hi:[1,0,1]
	v_mov_b32_e32 v1, v17
	v_pk_fma_f32 v[0:1], v[4:5], s[14:15], v[0:1] op_sel_hi:[1,0,1]
	v_mov_b32_e32 v49, v51
	v_pk_fma_f32 v[34:35], v[4:5], s[14:15], v[16:17] op_sel_hi:[1,0,1]
	s_mov_b32 s23, s12
	v_pk_mul_f32 v[4:5], v[0:1], s[16:17] op_sel_hi:[1,0]
	s_mov_b32 s17, s12
	v_pk_fma_f32 v[48:49], v[54:55], s[14:15], v[48:49] op_sel_hi:[1,0,1]
	v_pk_fma_f32 v[0:1], v[0:1], s[22:23], v[4:5] op_sel:[0,0,1] op_sel_hi:[1,1,0] neg_lo:[0,0,1] neg_hi:[0,0,1]
	v_pk_mul_f32 v[4:5], v[34:35], s[16:17] op_sel_hi:[0,1]
	s_mov_b32 s13, s16
	s_mov_b32 s21, s2
	v_pk_mul_f32 v[50:51], v[48:49], s[14:15] op_sel_hi:[1,0]
	v_pk_fma_f32 v[34:35], v[12:13], s[12:13], v[4:5] op_sel:[1,0,0]
	v_pk_fma_f32 v[4:5], v[12:13], s[12:13], v[4:5] op_sel:[1,0,0] neg_lo:[0,0,1] neg_hi:[0,0,1]
	v_pk_fma_f32 v[48:49], v[48:49], s[20:21], v[50:51] op_sel:[0,0,1] op_sel_hi:[1,1,0] neg_lo:[0,0,1] neg_hi:[0,0,1]
	v_mov_b32_e32 v35, v5
	v_pk_add_f32 v[20:21], v[28:29], v[30:31]
	v_pk_add_f32 v[24:25], v[52:53], v[60:61]
	v_pk_add_f32 v[26:27], v[32:33], v[48:49] op_sel:[0,1] op_sel_hi:[1,0]
	v_pk_add_f32 v[22:23], v[42:43], v[34:35]
	v_pk_add_f32 v[40:41], v[28:29], v[30:31] neg_lo:[0,1] neg_hi:[0,1]
	v_pk_add_f32 v[34:35], v[42:43], v[34:35] neg_lo:[0,1] neg_hi:[0,1]
	;; [unrolled: 1-line block ×3, first 2 shown]
	v_pk_add_f32 v[32:33], v[32:33], v[48:49] op_sel:[0,1] op_sel_hi:[1,0] neg_lo:[0,1] neg_hi:[0,1]
	ds_read2_b64 v[28:31], v225 offset0:10 offset1:15
	ds_read2_b64 v[42:45], v225 offset0:40 offset1:45
	;; [unrolled: 1-line block ×5, first 2 shown]
	v_pk_add_f32 v[60:61], v[70:71], v[62:63]
	v_pk_add_f32 v[72:73], v[66:67], v[38:39]
	v_pk_add_f32 v[76:77], v[62:63], v[58:59] neg_lo:[0,1] neg_hi:[0,1]
	v_pk_add_f32 v[60:61], v[60:61], v[66:67]
	v_pk_fma_f32 v[72:73], v[72:73], 0.5, v[70:71] op_sel_hi:[1,0,1] neg_lo:[1,0,0] neg_hi:[1,0,0]
	v_pk_mul_f32 v[78:79], v[76:77], s[2:3] op_sel_hi:[1,0]
	v_pk_add_f32 v[84:85], v[62:63], v[66:67] neg_lo:[0,1] neg_hi:[0,1]
	v_pk_add_f32 v[86:87], v[58:59], v[38:39] neg_lo:[0,1] neg_hi:[0,1]
	v_pk_add_f32 v[60:61], v[60:61], v[38:39]
	v_pk_add_f32 v[80:81], v[66:67], v[38:39] neg_lo:[0,1] neg_hi:[0,1]
	v_pk_add_f32 v[84:85], v[84:85], v[86:87]
	v_pk_add_f32 v[86:87], v[72:73], v[78:79] op_sel:[0,1] op_sel_hi:[1,0]
	v_pk_add_f32 v[72:73], v[72:73], v[78:79] op_sel:[0,1] op_sel_hi:[1,0] neg_lo:[0,1] neg_hi:[0,1]
	v_pk_add_f32 v[78:79], v[62:63], v[58:59]
	v_pk_add_f32 v[62:63], v[66:67], v[62:63] neg_lo:[0,1] neg_hi:[0,1]
	v_pk_add_f32 v[38:39], v[38:39], v[58:59] neg_lo:[0,1] neg_hi:[0,1]
	v_pk_mul_f32 v[82:83], v[80:81], s[12:13] op_sel_hi:[1,0]
	v_pk_add_f32 v[62:63], v[62:63], v[38:39]
	s_waitcnt lgkmcnt(1)
	v_pk_add_f32 v[90:91], v[48:49], v[52:53] neg_lo:[0,1] neg_hi:[0,1]
	s_waitcnt lgkmcnt(0)
	v_pk_add_f32 v[38:39], v[44:45], v[56:57]
	v_pk_add_f32 v[64:65], v[60:61], v[58:59]
	v_pk_add_f32 v[88:89], v[72:73], v[82:83] op_sel:[0,1] op_sel_hi:[1,0] neg_lo:[0,1] neg_hi:[0,1]
	v_pk_add_f32 v[82:83], v[86:87], v[82:83] op_sel:[0,1] op_sel_hi:[1,0]
	v_pk_fma_f32 v[70:71], v[78:79], 0.5, v[70:71] op_sel_hi:[1,0,1] neg_lo:[1,0,0] neg_hi:[1,0,0]
	v_pk_add_f32 v[86:87], v[44:45], v[56:57] neg_lo:[0,1] neg_hi:[0,1]
	v_pk_fma_f32 v[38:39], v[38:39], 0.5, v[30:31] op_sel_hi:[1,0,1] neg_lo:[1,0,0] neg_hi:[1,0,0]
	v_pk_mul_f32 v[58:59], v[90:91], s[2:3] op_sel_hi:[1,0]
	v_pk_add_f32 v[78:79], v[48:49], v[44:45] neg_lo:[0,1] neg_hi:[0,1]
	v_pk_add_f32 v[92:93], v[52:53], v[56:57] neg_lo:[0,1] neg_hi:[0,1]
	v_pk_mul_f32 v[66:67], v[86:87], s[12:13] op_sel_hi:[1,0]
	v_pk_add_f32 v[78:79], v[78:79], v[92:93]
	v_pk_add_f32 v[92:93], v[38:39], v[58:59] op_sel:[0,1] op_sel_hi:[1,0] neg_lo:[0,1] neg_hi:[0,1]
	v_pk_add_f32 v[38:39], v[38:39], v[58:59] op_sel:[0,1] op_sel_hi:[1,0]
	v_pk_mul_f32 v[80:81], v[80:81], s[2:3] op_sel_hi:[1,0]
	v_pk_add_f32 v[58:59], v[38:39], v[66:67] op_sel:[0,1] op_sel_hi:[1,0] neg_lo:[0,1] neg_hi:[0,1]
	v_pk_add_f32 v[66:67], v[92:93], v[66:67] op_sel:[0,1] op_sel_hi:[1,0]
	v_mov_b32_e32 v39, v59
	v_mov_b32_e32 v38, v66
	v_pk_fma_f32 v[92:93], v[78:79], s[14:15], v[38:39] op_sel_hi:[1,0,1]
	v_pk_mul_f32 v[76:77], v[76:77], s[12:13] op_sel_hi:[1,0]
	v_pk_mul_f32 v[94:95], v[92:93], s[2:3] op_sel_hi:[1,0]
	v_mov_b32_e32 v59, v67
	v_pk_fma_f32 v[38:39], v[92:93], s[14:15], v[94:95] op_sel:[0,0,1] op_sel_hi:[1,0,0]
	v_pk_fma_f32 v[92:93], v[92:93], s[14:15], v[94:95] op_sel:[0,0,1] op_sel_hi:[1,0,0] neg_lo:[0,0,1] neg_hi:[0,0,1]
	v_pk_fma_f32 v[58:59], v[78:79], s[14:15], v[58:59] op_sel_hi:[1,0,1]
	v_mov_b32_e32 v39, v93
	v_pk_add_f32 v[92:93], v[70:71], v[80:81] op_sel:[0,1] op_sel_hi:[1,0] neg_lo:[0,1] neg_hi:[0,1]
	v_pk_add_f32 v[70:71], v[70:71], v[80:81] op_sel:[0,1] op_sel_hi:[1,0]
	v_pk_add_f32 v[92:93], v[92:93], v[76:77] op_sel:[0,1] op_sel_hi:[1,0]
	v_pk_add_f32 v[80:81], v[70:71], v[76:77] op_sel:[0,1] op_sel_hi:[1,0] neg_lo:[0,1] neg_hi:[0,1]
	v_pk_add_f32 v[60:61], v[30:31], v[44:45]
	v_mov_b32_e32 v70, v92
	v_mov_b32_e32 v71, v81
	v_pk_mul_f32 v[66:67], v[58:59], s[14:15] op_sel_hi:[1,0]
	v_mov_b32_e32 v81, v93
	v_pk_add_f32 v[60:61], v[60:61], v[48:49]
	v_pk_fma_f32 v[70:71], v[62:63], s[14:15], v[70:71] op_sel_hi:[1,0,1]
	v_pk_fma_f32 v[58:59], v[58:59], s[20:21], v[66:67] op_sel:[0,0,1] op_sel_hi:[1,1,0] neg_lo:[0,0,1] neg_hi:[0,0,1]
	v_pk_fma_f32 v[66:67], v[62:63], s[14:15], v[80:81] op_sel_hi:[1,0,1]
	v_pk_add_f32 v[62:63], v[48:49], v[52:53]
	v_pk_add_f32 v[60:61], v[60:61], v[52:53]
	v_pk_fma_f32 v[62:63], v[62:63], 0.5, v[30:31] op_sel_hi:[1,0,1] neg_lo:[1,0,0] neg_hi:[1,0,0]
	v_pk_add_f32 v[30:31], v[44:45], v[48:49] neg_lo:[0,1] neg_hi:[0,1]
	v_pk_mul_f32 v[48:49], v[86:87], s[2:3] op_sel_hi:[1,0]
	v_pk_add_f32 v[68:69], v[60:61], v[56:57]
	v_pk_add_f32 v[44:45], v[56:57], v[52:53] neg_lo:[0,1] neg_hi:[0,1]
	v_pk_add_f32 v[52:53], v[62:63], v[48:49] op_sel:[0,1] op_sel_hi:[1,0]
	v_pk_mul_f32 v[56:57], v[90:91], s[12:13] op_sel_hi:[1,0]
	v_pk_add_f32 v[48:49], v[62:63], v[48:49] op_sel:[0,1] op_sel_hi:[1,0] neg_lo:[0,1] neg_hi:[0,1]
	v_pk_add_f32 v[44:45], v[30:31], v[44:45]
	v_pk_add_f32 v[52:53], v[56:57], v[52:53] op_sel:[1,0] op_sel_hi:[0,1]
	v_pk_add_f32 v[48:49], v[48:49], v[56:57] op_sel:[0,1] op_sel_hi:[1,0] neg_lo:[0,1] neg_hi:[0,1]
	v_pk_fma_f32 v[80:81], v[44:45], s[14:15], v[52:53] op_sel_hi:[1,0,1]
	v_pk_fma_f32 v[56:57], v[44:45], s[14:15], v[48:49] op_sel_hi:[1,0,1]
	v_mov_b32_e32 v49, v53
	v_pk_fma_f32 v[44:45], v[44:45], s[14:15], v[48:49] op_sel_hi:[1,0,1]
	v_mov_b32_e32 v72, v82
	v_pk_mul_f32 v[48:49], v[44:45], s[16:17] op_sel_hi:[1,0]
	v_mov_b32_e32 v73, v89
	v_pk_fma_f32 v[44:45], v[44:45], s[22:23], v[48:49] op_sel:[0,0,1] op_sel_hi:[1,1,0] neg_lo:[0,0,1] neg_hi:[0,0,1]
	v_pk_mul_f32 v[48:49], v[80:81], s[16:17] op_sel_hi:[0,1]
	v_mov_b32_e32 v89, v83
	v_pk_fma_f32 v[52:53], v[56:57], s[12:13], v[48:49] op_sel:[1,0,0]
	v_pk_fma_f32 v[48:49], v[56:57], s[12:13], v[48:49] op_sel:[1,0,0] neg_lo:[0,0,1] neg_hi:[0,0,1]
	v_pk_fma_f32 v[72:73], v[84:85], s[14:15], v[72:73] op_sel_hi:[1,0,1]
	v_pk_fma_f32 v[30:31], v[84:85], s[14:15], v[88:89] op_sel_hi:[1,0,1]
	v_mov_b32_e32 v53, v49
	v_pk_add_f32 v[60:61], v[64:65], v[68:69]
	v_pk_add_f32 v[62:63], v[72:73], v[52:53]
	v_pk_add_f32 v[48:49], v[30:31], v[44:45] op_sel:[1,0] op_sel_hi:[0,1]
	v_pk_add_f32 v[16:17], v[8:9], v[0:1] op_sel:[1,0] op_sel_hi:[0,1]
	s_waitcnt lgkmcnt(0)
	; wave barrier
	v_pk_add_f32 v[76:77], v[70:71], v[38:39]
	v_pk_add_f32 v[78:79], v[66:67], v[58:59] op_sel:[0,1] op_sel_hi:[1,0]
	ds_write_b128 v205, v[60:63]
	ds_write_b128 v205, v[76:79] offset:16
	v_pk_add_f32 v[62:63], v[64:65], v[68:69] neg_lo:[0,1] neg_hi:[0,1]
	v_mov_b32_e32 v60, v49
	v_mov_b32_e32 v61, v48
	v_pk_add_f32 v[30:31], v[30:31], v[44:45] op_sel:[1,0] op_sel_hi:[0,1] neg_lo:[0,1] neg_hi:[0,1]
	v_pk_add_f32 v[12:13], v[8:9], v[0:1] op_sel:[1,0] op_sel_hi:[0,1] neg_lo:[0,1] neg_hi:[0,1]
	ds_write_b128 v205, v[60:63] offset:32
	v_pk_add_f32 v[60:61], v[72:73], v[52:53] neg_lo:[0,1] neg_hi:[0,1]
	v_pk_add_f32 v[62:63], v[70:71], v[38:39] neg_lo:[0,1] neg_hi:[0,1]
	v_pk_add_f32 v[56:57], v[66:67], v[58:59] op_sel:[0,1] op_sel_hi:[1,0] neg_lo:[0,1] neg_hi:[0,1]
	v_mov_b32_e32 v58, v31
	v_mov_b32_e32 v59, v30
	;; [unrolled: 1-line block ×4, first 2 shown]
	ds_write_b128 v205, v[60:63] offset:48
	ds_write_b128 v205, v[56:59] offset:64
	ds_write_b128 v201, v[20:23]
	ds_write_b128 v201, v[24:27] offset:16
	ds_write_b128 v201, v[38:41] offset:32
	;; [unrolled: 1-line block ×3, first 2 shown]
	v_mov_b32_e32 v34, v13
	v_mov_b32_e32 v35, v12
	v_pk_add_f32 v[12:13], v[46:47], v[50:51]
	v_pk_add_f32 v[16:17], v[42:43], v[54:55] neg_lo:[0,1] neg_hi:[0,1]
	v_pk_fma_f32 v[12:13], v[12:13], 0.5, v[28:29] op_sel_hi:[1,0,1] neg_lo:[1,0,0] neg_hi:[1,0,0]
	v_pk_mul_f32 v[20:21], v[16:17], s[2:3] op_sel_hi:[1,0]
	v_pk_add_f32 v[22:23], v[46:47], v[50:51] neg_lo:[0,1] neg_hi:[0,1]
	v_pk_add_f32 v[26:27], v[42:43], v[46:47] neg_lo:[0,1] neg_hi:[0,1]
	v_pk_add_f32 v[30:31], v[54:55], v[50:51] neg_lo:[0,1] neg_hi:[0,1]
	v_pk_mul_f32 v[24:25], v[22:23], s[12:13] op_sel_hi:[1,0]
	v_pk_add_f32 v[26:27], v[26:27], v[30:31]
	v_pk_add_f32 v[30:31], v[12:13], v[20:21] op_sel:[0,1] op_sel_hi:[1,0]
	v_pk_add_f32 v[12:13], v[12:13], v[20:21] op_sel:[0,1] op_sel_hi:[1,0] neg_lo:[0,1] neg_hi:[0,1]
	v_mul_u32_u24_e32 v0, 10, v209
	v_pk_add_f32 v[12:13], v[12:13], v[24:25] op_sel:[0,1] op_sel_hi:[1,0] neg_lo:[0,1] neg_hi:[0,1]
	v_pk_add_f32 v[24:25], v[30:31], v[24:25] op_sel:[0,1] op_sel_hi:[1,0]
	v_mov_b32_e32 v21, v13
	v_mov_b32_e32 v20, v24
	v_pk_fma_f32 v[30:31], v[26:27], s[14:15], v[20:21] op_sel_hi:[1,0,1]
	v_pk_add_f32 v[20:21], v[42:43], v[54:55]
	v_lshl_add_u32 v199, v0, 3, v74
	v_pk_add_f32 v[0:1], v[28:29], v[42:43]
	ds_write_b128 v201, v[32:35] offset:64
	v_pk_fma_f32 v[20:21], v[20:21], 0.5, v[28:29] op_sel_hi:[1,0,1] neg_lo:[1,0,0] neg_hi:[1,0,0]
	v_pk_add_f32 v[28:29], v[46:47], v[42:43] neg_lo:[0,1] neg_hi:[0,1]
	v_pk_add_f32 v[32:33], v[50:51], v[54:55] neg_lo:[0,1] neg_hi:[0,1]
	;; [unrolled: 1-line block ×3, first 2 shown]
	v_pk_add_f32 v[36:37], v[6:7], v[18:19]
	v_pk_add_f32 v[28:29], v[28:29], v[32:33]
	v_pk_add_f32 v[32:33], v[6:7], v[18:19] neg_lo:[0,1] neg_hi:[0,1]
	v_pk_fma_f32 v[36:37], v[36:37], 0.5, v[2:3] op_sel_hi:[1,0,1] neg_lo:[1,0,0] neg_hi:[1,0,0]
	v_pk_mul_f32 v[38:39], v[34:35], s[2:3] op_sel_hi:[1,0]
	v_pk_add_f32 v[42:43], v[10:11], v[6:7] neg_lo:[0,1] neg_hi:[0,1]
	v_pk_add_f32 v[44:45], v[14:15], v[18:19] neg_lo:[0,1] neg_hi:[0,1]
	v_pk_mul_f32 v[40:41], v[32:33], s[12:13] op_sel_hi:[1,0]
	v_pk_add_f32 v[42:43], v[42:43], v[44:45]
	v_pk_add_f32 v[44:45], v[36:37], v[38:39] op_sel:[0,1] op_sel_hi:[1,0] neg_lo:[0,1] neg_hi:[0,1]
	v_pk_add_f32 v[36:37], v[36:37], v[38:39] op_sel:[0,1] op_sel_hi:[1,0]
	v_pk_add_f32 v[38:39], v[44:45], v[40:41] op_sel:[0,1] op_sel_hi:[1,0]
	v_pk_add_f32 v[36:37], v[36:37], v[40:41] op_sel:[0,1] op_sel_hi:[1,0] neg_lo:[0,1] neg_hi:[0,1]
	v_mov_b32_e32 v40, v38
	v_mov_b32_e32 v41, v37
	v_pk_fma_f32 v[40:41], v[42:43], s[14:15], v[40:41] op_sel_hi:[1,0,1]
	v_pk_add_f32 v[0:1], v[0:1], v[46:47]
	v_pk_mul_f32 v[44:45], v[40:41], s[2:3] op_sel_hi:[1,0]
	v_pk_mul_f32 v[22:23], v[22:23], s[2:3] op_sel_hi:[1,0]
	v_pk_fma_f32 v[46:47], v[40:41], s[14:15], v[44:45] op_sel:[0,0,1] op_sel_hi:[1,0,0]
	v_pk_fma_f32 v[40:41], v[40:41], s[14:15], v[44:45] op_sel:[0,0,1] op_sel_hi:[1,0,0] neg_lo:[0,0,1] neg_hi:[0,0,1]
	v_pk_mul_f32 v[16:17], v[16:17], s[12:13] op_sel_hi:[1,0]
	v_mov_b32_e32 v47, v41
	v_pk_add_f32 v[40:41], v[20:21], v[22:23] op_sel:[0,1] op_sel_hi:[1,0] neg_lo:[0,1] neg_hi:[0,1]
	v_pk_add_f32 v[20:21], v[20:21], v[22:23] op_sel:[0,1] op_sel_hi:[1,0]
	v_pk_add_f32 v[0:1], v[0:1], v[50:51]
	v_pk_add_f32 v[22:23], v[20:21], v[16:17] op_sel:[0,1] op_sel_hi:[1,0] neg_lo:[0,1] neg_hi:[0,1]
	v_pk_add_f32 v[16:17], v[40:41], v[16:17] op_sel:[0,1] op_sel_hi:[1,0]
	v_pk_add_f32 v[4:5], v[0:1], v[54:55]
	v_pk_add_f32 v[0:1], v[2:3], v[6:7]
	v_mov_b32_e32 v20, v16
	v_mov_b32_e32 v21, v23
	;; [unrolled: 1-line block ×3, first 2 shown]
	v_pk_add_f32 v[0:1], v[0:1], v[10:11]
	v_pk_fma_f32 v[40:41], v[28:29], s[14:15], v[20:21] op_sel_hi:[1,0,1]
	v_pk_fma_f32 v[16:17], v[28:29], s[14:15], v[22:23] op_sel_hi:[1,0,1]
	v_pk_add_f32 v[28:29], v[10:11], v[14:15]
	v_pk_add_f32 v[6:7], v[6:7], v[10:11] neg_lo:[0,1] neg_hi:[0,1]
	v_pk_add_f32 v[10:11], v[18:19], v[14:15] neg_lo:[0,1] neg_hi:[0,1]
	v_mov_b32_e32 v13, v25
	v_pk_add_f32 v[0:1], v[0:1], v[14:15]
	v_pk_fma_f32 v[2:3], v[28:29], 0.5, v[2:3] op_sel_hi:[1,0,1] neg_lo:[1,0,0] neg_hi:[1,0,0]
	v_pk_add_f32 v[6:7], v[6:7], v[10:11]
	v_pk_fma_f32 v[10:11], v[26:27], s[14:15], v[12:13] op_sel_hi:[1,0,1]
	v_pk_mul_f32 v[12:13], v[32:33], s[2:3] op_sel_hi:[1,0]
	v_pk_add_f32 v[8:9], v[0:1], v[18:19]
	v_pk_add_f32 v[14:15], v[2:3], v[12:13] op_sel:[0,1] op_sel_hi:[1,0]
	v_pk_mul_f32 v[18:19], v[34:35], s[12:13] op_sel_hi:[1,0]
	v_pk_add_f32 v[2:3], v[2:3], v[12:13] op_sel:[0,1] op_sel_hi:[1,0] neg_lo:[0,1] neg_hi:[0,1]
	v_pk_add_f32 v[14:15], v[18:19], v[14:15] op_sel:[1,0] op_sel_hi:[0,1]
	v_pk_add_f32 v[2:3], v[2:3], v[18:19] op_sel:[0,1] op_sel_hi:[1,0] neg_lo:[0,1] neg_hi:[0,1]
	v_pk_fma_f32 v[24:25], v[6:7], s[14:15], v[14:15] op_sel_hi:[1,0,1]
	v_pk_fma_f32 v[12:13], v[6:7], s[14:15], v[2:3] op_sel_hi:[1,0,1]
	v_mov_b32_e32 v3, v15
	v_pk_fma_f32 v[2:3], v[6:7], s[14:15], v[2:3] op_sel_hi:[1,0,1]
	v_mov_b32_e32 v37, v39
	v_pk_mul_f32 v[6:7], v[2:3], s[16:17] op_sel_hi:[1,0]
	v_pk_fma_f32 v[36:37], v[42:43], s[14:15], v[36:37] op_sel_hi:[1,0,1]
	v_pk_fma_f32 v[6:7], v[2:3], s[22:23], v[6:7] op_sel:[0,0,1] op_sel_hi:[1,1,0] neg_lo:[0,0,1] neg_hi:[0,0,1]
	v_pk_mul_f32 v[2:3], v[24:25], s[16:17] op_sel_hi:[0,1]
	v_pk_fma_f32 v[14:15], v[12:13], s[12:13], v[2:3] op_sel:[1,0,0]
	v_pk_fma_f32 v[2:3], v[12:13], s[12:13], v[2:3] op_sel:[1,0,0] neg_lo:[0,0,1] neg_hi:[0,0,1]
	v_pk_mul_f32 v[38:39], v[36:37], s[14:15] op_sel_hi:[1,0]
	v_mov_b32_e32 v15, v3
	v_pk_add_f32 v[0:1], v[4:5], v[8:9]
	v_pk_fma_f32 v[36:37], v[36:37], s[20:21], v[38:39] op_sel:[0,0,1] op_sel_hi:[1,1,0] neg_lo:[0,0,1] neg_hi:[0,0,1]
	v_pk_add_f32 v[2:3], v[30:31], v[14:15]
	v_pk_add_f32 v[12:13], v[10:11], v[6:7] op_sel:[1,0] op_sel_hi:[0,1]
	v_pk_add_f32 v[20:21], v[40:41], v[46:47]
	v_pk_add_f32 v[22:23], v[16:17], v[36:37] op_sel:[0,1] op_sel_hi:[1,0]
	ds_write_b128 v199, v[0:3]
	ds_write_b128 v199, v[20:23] offset:16
	v_pk_add_f32 v[2:3], v[4:5], v[8:9] neg_lo:[0,1] neg_hi:[0,1]
	v_mov_b32_e32 v0, v13
	v_mov_b32_e32 v1, v12
	ds_write_b128 v199, v[0:3] offset:32
	v_pk_add_f32 v[0:1], v[30:31], v[14:15] neg_lo:[0,1] neg_hi:[0,1]
	v_pk_add_f32 v[2:3], v[40:41], v[46:47] neg_lo:[0,1] neg_hi:[0,1]
	v_pk_add_f32 v[4:5], v[10:11], v[6:7] op_sel:[1,0] op_sel_hi:[0,1] neg_lo:[0,1] neg_hi:[0,1]
	ds_write_b128 v199, v[0:3] offset:48
	v_pk_add_f32 v[0:1], v[16:17], v[36:37] op_sel:[0,1] op_sel_hi:[1,0] neg_lo:[0,1] neg_hi:[0,1]
	v_mov_b32_e32 v2, v5
	v_mov_b32_e32 v3, v4
	ds_write_b128 v199, v[0:3] offset:64
	v_lshlrev_b32_e32 v0, 5, v142
	s_waitcnt lgkmcnt(0)
	; wave barrier
	s_waitcnt lgkmcnt(0)
	global_load_dwordx4 v[4:7], v0, s[10:11]
	global_load_dwordx4 v[8:11], v0, s[10:11] offset:16
	v_lshlrev_b32_e32 v0, 5, v207
	global_load_dwordx4 v[52:55], v0, s[10:11]
	global_load_dwordx4 v[48:51], v0, s[10:11] offset:16
	v_lshl_add_u64 v[46:47], v[142:143], 0, 20
	s_movk_i32 s3, 0xcd
	v_mul_lo_u16_sdwa v0, v46, s3 dst_sel:DWORD dst_unused:UNUSED_PAD src0_sel:BYTE_0 src1_sel:DWORD
	v_lshrrev_b16_e32 v0, 11, v0
	v_mul_lo_u16_e32 v0, 10, v0
	v_sub_u16_e32 v0, v46, v0
	v_lshlrev_b16_e32 v1, 2, v0
	v_and_b32_e32 v1, 0xfc, v1
	v_lshl_add_u64 v[72:73], v[142:143], 0, 25
	v_lshlrev_b32_e32 v1, 3, v1
	global_load_dwordx4 v[134:137], v1, s[10:11] offset:16
	global_load_dwordx4 v[12:15], v1, s[10:11]
	v_mul_lo_u16_sdwa v1, v72, s3 dst_sel:DWORD dst_unused:UNUSED_PAD src0_sel:BYTE_0 src1_sel:DWORD
	v_lshrrev_b16_e32 v1, 11, v1
	v_mul_lo_u16_e32 v1, 10, v1
	v_sub_u16_e32 v1, v72, v1
	v_lshlrev_b16_e32 v2, 2, v1
	v_and_b32_e32 v2, 0xfc, v2
	v_lshlrev_b32_e32 v2, 3, v2
	ds_read2_b64 v[24:27], v225 offset0:30 offset1:35
	global_load_dwordx4 v[16:19], v2, s[10:11] offset:16
	global_load_dwordx4 v[20:23], v2, s[10:11]
	ds_read2_b64 v[32:35], v225 offset0:60 offset1:65
	ds_read2_b64 v[36:39], v225 offset0:90 offset1:95
	ds_read2_b64 v[40:43], v225 offset0:120 offset1:125
	v_and_b32_e32 v0, 0xff, v0
	v_lshl_add_u32 v143, v0, 3, v74
	v_and_b32_e32 v0, 0xff, v1
	v_mov_b32_e32 v233, v220
	s_mov_b32 s20, s14
	s_waitcnt vmcnt(7) lgkmcnt(3)
	v_pk_mul_f32 v[28:29], v[24:25], v[4:5] op_sel:[0,1]
	s_nop 0
	v_pk_fma_f32 v[44:45], v[24:25], v[4:5], v[28:29] op_sel:[0,0,1] op_sel_hi:[1,1,0] neg_lo:[0,0,1] neg_hi:[0,0,1]
	v_pk_fma_f32 v[24:25], v[24:25], v[4:5], v[28:29] op_sel:[0,0,1] op_sel_hi:[1,0,0]
	v_mov_b32_e32 v200, v7
	v_mov_b32_e32 v45, v25
	s_waitcnt lgkmcnt(2)
	v_pk_mul_f32 v[24:25], v[32:33], v[200:201] op_sel_hi:[1,0]
	s_waitcnt vmcnt(6)
	v_mov_b32_e32 v198, v11
	v_pk_fma_f32 v[28:29], v[32:33], v[6:7], v[24:25] op_sel:[0,0,1] op_sel_hi:[1,1,0] neg_lo:[0,0,1] neg_hi:[0,0,1]
	v_pk_fma_f32 v[24:25], v[32:33], v[6:7], v[24:25] op_sel:[0,0,1] op_sel_hi:[1,0,0]
	ds_read2_b64 v[30:33], v225 offset1:5
	v_mov_b32_e32 v29, v25
	s_waitcnt lgkmcnt(2)
	v_pk_mul_f32 v[24:25], v[36:37], v[8:9] op_sel:[0,1]
	s_waitcnt vmcnt(5)
	v_mov_b32_e32 v204, v55
	v_pk_fma_f32 v[56:57], v[36:37], v[8:9], v[24:25] op_sel:[0,0,1] op_sel_hi:[1,1,0] neg_lo:[0,0,1] neg_hi:[0,0,1]
	v_pk_fma_f32 v[24:25], v[36:37], v[8:9], v[24:25] op_sel:[0,0,1] op_sel_hi:[1,0,0]
	s_waitcnt vmcnt(4)
	v_mov_b32_e32 v206, v51
	v_mov_b32_e32 v57, v25
	s_waitcnt lgkmcnt(1)
	v_pk_mul_f32 v[24:25], v[40:41], v[198:199] op_sel_hi:[1,0]
	s_waitcnt vmcnt(2)
	v_mov_b32_e32 v216, v15
	v_pk_fma_f32 v[36:37], v[40:41], v[10:11], v[24:25] op_sel:[0,0,1] op_sel_hi:[1,1,0] neg_lo:[0,0,1] neg_hi:[0,0,1]
	v_pk_fma_f32 v[24:25], v[40:41], v[10:11], v[24:25] op_sel:[0,0,1] op_sel_hi:[1,0,0]
	v_lshl_add_u32 v11, v0, 3, v74
	v_mov_b32_e32 v37, v25
	s_waitcnt lgkmcnt(0)
	v_pk_add_f32 v[24:25], v[30:31], v[44:45]
	v_pk_add_f32 v[58:59], v[36:37], v[56:57] neg_lo:[0,1] neg_hi:[0,1]
	v_pk_add_f32 v[24:25], v[24:25], v[28:29]
	s_waitcnt vmcnt(0)
	v_mov_b32_e32 v208, v23
	v_pk_add_f32 v[24:25], v[24:25], v[56:57]
	v_mov_b32_e32 v212, v137
	v_pk_add_f32 v[110:111], v[24:25], v[36:37]
	v_pk_mul_f32 v[24:25], v[26:27], v[52:53] op_sel:[0,1]
	v_mov_b32_e32 v202, v19
	v_pk_fma_f32 v[94:95], v[26:27], v[52:53], v[24:25] op_sel:[0,0,1] op_sel_hi:[1,1,0] neg_lo:[0,0,1] neg_hi:[0,0,1]
	v_pk_fma_f32 v[24:25], v[26:27], v[52:53], v[24:25] op_sel:[0,0,1] op_sel_hi:[1,0,0]
	v_pk_add_f32 v[26:27], v[44:45], v[36:37] neg_lo:[0,1] neg_hi:[0,1]
	v_mov_b32_e32 v95, v25
	v_pk_mul_f32 v[24:25], v[34:35], v[204:205] op_sel_hi:[1,0]
	v_lshlrev_b32_e32 v0, 4, v207
	v_pk_fma_f32 v[96:97], v[34:35], v[54:55], v[24:25] op_sel:[0,0,1] op_sel_hi:[1,1,0] neg_lo:[0,0,1] neg_hi:[0,0,1]
	v_pk_fma_f32 v[24:25], v[34:35], v[54:55], v[24:25] op_sel:[0,0,1] op_sel_hi:[1,0,0]
	v_pk_mul_f32 v[34:35], v[26:27], s[2:3] op_sel_hi:[1,0]
	v_mov_b32_e32 v97, v25
	v_pk_mul_f32 v[24:25], v[38:39], v[48:49] op_sel:[0,1]
	v_pk_mul_f32 v[26:27], v[26:27], s[12:13] op_sel_hi:[1,0]
	v_pk_fma_f32 v[100:101], v[38:39], v[48:49], v[24:25] op_sel:[0,0,1] op_sel_hi:[1,1,0] neg_lo:[0,0,1] neg_hi:[0,0,1]
	v_pk_fma_f32 v[24:25], v[38:39], v[48:49], v[24:25] op_sel:[0,0,1] op_sel_hi:[1,0,0]
	v_pk_add_f32 v[38:39], v[28:29], v[56:57] neg_lo:[0,1] neg_hi:[0,1]
	v_mov_b32_e32 v101, v25
	v_pk_mul_f32 v[24:25], v[42:43], v[206:207] op_sel_hi:[1,0]
	v_pk_mul_f32 v[40:41], v[38:39], s[12:13] op_sel_hi:[1,0]
	v_pk_fma_f32 v[102:103], v[42:43], v[50:51], v[24:25] op_sel:[0,0,1] op_sel_hi:[1,1,0] neg_lo:[0,0,1] neg_hi:[0,0,1]
	v_pk_fma_f32 v[24:25], v[42:43], v[50:51], v[24:25] op_sel:[0,0,1] op_sel_hi:[1,0,0]
	v_pk_add_f32 v[42:43], v[44:45], v[28:29] neg_lo:[0,1] neg_hi:[0,1]
	v_mov_b32_e32 v103, v25
	v_pk_add_f32 v[24:25], v[32:33], v[94:95]
	v_pk_add_f32 v[42:43], v[42:43], v[58:59]
	v_pk_add_f32 v[24:25], v[24:25], v[96:97]
	v_pk_add_f32 v[240:241], v[96:97], v[100:101] neg_lo:[0,1] neg_hi:[0,1]
	v_pk_add_f32 v[24:25], v[24:25], v[100:101]
	v_pk_add_f32 v[242:243], v[94:95], v[96:97] neg_lo:[0,1] neg_hi:[0,1]
	v_pk_add_f32 v[120:121], v[24:25], v[102:103]
	v_pk_add_f32 v[24:25], v[28:29], v[56:57]
	v_pk_add_f32 v[28:29], v[28:29], v[44:45] neg_lo:[0,1] neg_hi:[0,1]
	v_pk_fma_f32 v[24:25], v[24:25], 0.5, v[30:31] op_sel_hi:[1,0,1] neg_lo:[1,0,0] neg_hi:[1,0,0]
	v_pk_add_f32 v[244:245], v[102:103], v[100:101] neg_lo:[0,1] neg_hi:[0,1]
	v_pk_add_f32 v[58:59], v[24:25], v[34:35] op_sel:[0,1] op_sel_hi:[1,0]
	v_pk_add_f32 v[24:25], v[24:25], v[34:35] op_sel:[0,1] op_sel_hi:[1,0] neg_lo:[0,1] neg_hi:[0,1]
	v_pk_add_f32 v[34:35], v[58:59], v[40:41] op_sel:[0,1] op_sel_hi:[1,0]
	v_pk_add_f32 v[24:25], v[24:25], v[40:41] op_sel:[0,1] op_sel_hi:[1,0] neg_lo:[0,1] neg_hi:[0,1]
	v_mov_b32_e32 v40, v34
	v_mov_b32_e32 v41, v25
	v_pk_fma_f32 v[108:109], v[42:43], s[14:15], v[40:41] op_sel_hi:[1,0,1]
	v_pk_add_f32 v[40:41], v[44:45], v[36:37]
	v_pk_add_f32 v[36:37], v[56:57], v[36:37] neg_lo:[0,1] neg_hi:[0,1]
	v_pk_fma_f32 v[30:31], v[40:41], 0.5, v[30:31] op_sel_hi:[1,0,1] neg_lo:[1,0,0] neg_hi:[1,0,0]
	v_pk_add_f32 v[28:29], v[28:29], v[36:37]
	v_pk_mul_f32 v[36:37], v[38:39], s[2:3] op_sel_hi:[1,0]
	v_mov_b32_e32 v25, v35
	v_pk_add_f32 v[38:39], v[30:31], v[36:37] op_sel:[0,1] op_sel_hi:[1,0] neg_lo:[0,1] neg_hi:[0,1]
	v_pk_add_f32 v[30:31], v[30:31], v[36:37] op_sel:[0,1] op_sel_hi:[1,0]
	v_pk_fma_f32 v[98:99], v[42:43], s[14:15], v[24:25] op_sel_hi:[1,0,1]
	v_pk_add_f32 v[30:31], v[30:31], v[26:27] op_sel:[0,1] op_sel_hi:[1,0] neg_lo:[0,1] neg_hi:[0,1]
	v_pk_add_f32 v[26:27], v[38:39], v[26:27] op_sel:[0,1] op_sel_hi:[1,0]
	v_mov_b32_e32 v37, v31
	v_mov_b32_e32 v36, v26
	v_pk_fma_f32 v[106:107], v[28:29], s[14:15], v[36:37] op_sel_hi:[1,0,1]
	v_mov_b32_e32 v31, v27
	ds_read2_b64 v[56:59], v225 offset0:40 offset1:45
	ds_read2_b64 v[24:27], v225 offset0:10 offset1:15
	;; [unrolled: 1-line block ×5, first 2 shown]
	v_pk_fma_f32 v[104:105], v[28:29], s[14:15], v[30:31] op_sel_hi:[1,0,1]
	s_waitcnt lgkmcnt(4)
	v_pk_mul_f32 v[28:29], v[58:59], v[52:53] op_sel:[0,1]
	v_pk_add_f32 v[242:243], v[242:243], v[244:245]
	v_pk_fma_f32 v[60:61], v[58:59], v[52:53], v[28:29] op_sel:[0,0,1] op_sel_hi:[1,1,0] neg_lo:[0,0,1] neg_hi:[0,0,1]
	v_pk_fma_f32 v[28:29], v[58:59], v[52:53], v[28:29] op_sel:[0,0,1] op_sel_hi:[1,0,0]
	v_pk_mul_f32 v[214:215], v[56:57], v[4:5] op_sel:[0,1]
	v_mov_b32_e32 v61, v29
	s_waitcnt lgkmcnt(2)
	v_pk_mul_f32 v[28:29], v[44:45], v[204:205] op_sel_hi:[1,0]
	v_pk_fma_f32 v[210:211], v[56:57], v[4:5], v[214:215] op_sel:[0,0,1] op_sel_hi:[1,1,0] neg_lo:[0,0,1] neg_hi:[0,0,1]
	v_pk_fma_f32 v[58:59], v[44:45], v[54:55], v[28:29] op_sel:[0,0,1] op_sel_hi:[1,1,0] neg_lo:[0,0,1] neg_hi:[0,0,1]
	v_pk_fma_f32 v[28:29], v[44:45], v[54:55], v[28:29] op_sel:[0,0,1] op_sel_hi:[1,0,0]
	v_pk_fma_f32 v[56:57], v[56:57], v[4:5], v[214:215] op_sel:[0,0,1] op_sel_hi:[1,0,0]
	v_mov_b32_e32 v59, v29
	s_waitcnt lgkmcnt(1)
	v_pk_mul_f32 v[28:29], v[40:41], v[48:49] op_sel:[0,1]
	v_pk_add_f32 v[30:31], v[58:59], v[60:61] neg_lo:[0,1] neg_hi:[0,1]
	v_pk_fma_f32 v[44:45], v[40:41], v[48:49], v[28:29] op_sel:[0,0,1] op_sel_hi:[1,1,0] neg_lo:[0,0,1] neg_hi:[0,0,1]
	v_pk_fma_f32 v[28:29], v[40:41], v[48:49], v[28:29] op_sel:[0,0,1] op_sel_hi:[1,0,0]
	v_pk_mul_f32 v[214:215], v[42:43], v[200:201] op_sel_hi:[1,0]
	v_mov_b32_e32 v45, v29
	s_waitcnt lgkmcnt(0)
	v_pk_mul_f32 v[28:29], v[36:37], v[206:207] op_sel_hi:[1,0]
	v_mov_b32_e32 v211, v57
	v_pk_fma_f32 v[62:63], v[36:37], v[50:51], v[28:29] op_sel:[0,0,1] op_sel_hi:[1,1,0] neg_lo:[0,0,1] neg_hi:[0,0,1]
	v_pk_fma_f32 v[28:29], v[36:37], v[50:51], v[28:29] op_sel:[0,0,1] op_sel_hi:[1,0,0]
	v_pk_add_f32 v[36:37], v[58:59], v[44:45] neg_lo:[0,1] neg_hi:[0,1]
	v_mov_b32_e32 v63, v29
	v_pk_add_f32 v[28:29], v[60:61], v[62:63]
	v_pk_add_f32 v[64:65], v[44:45], v[62:63] neg_lo:[0,1] neg_hi:[0,1]
	v_pk_fma_f32 v[28:29], v[28:29], 0.5, v[26:27] op_sel_hi:[1,0,1] neg_lo:[1,0,0] neg_hi:[1,0,0]
	v_pk_add_f32 v[40:41], v[60:61], v[62:63] neg_lo:[0,1] neg_hi:[0,1]
	v_pk_add_f32 v[66:67], v[30:31], v[64:65]
	v_pk_fma_f32 v[30:31], v[36:37], s[2:3], v[28:29] op_sel:[1,0,0] op_sel_hi:[0,0,1]
	v_pk_fma_f32 v[28:29], v[36:37], s[2:3], v[28:29] op_sel:[1,0,0] op_sel_hi:[0,0,1] neg_lo:[1,0,0] neg_hi:[1,0,0]
	v_pk_fma_f32 v[68:69], v[40:41], s[12:13], v[28:29] op_sel:[1,0,0] op_sel_hi:[0,0,1]
	v_pk_fma_f32 v[70:71], v[40:41], s[12:13], v[30:31] op_sel:[1,0,0] op_sel_hi:[0,0,1] neg_lo:[1,0,0] neg_hi:[1,0,0]
	v_mov_b32_e32 v28, v70
	v_mov_b32_e32 v29, v69
	v_pk_fma_f32 v[64:65], v[66:67], s[14:15], v[28:29] op_sel_hi:[1,0,1]
	ds_read2_b64 v[114:117], v225 offset0:50 offset1:55
	ds_read2_b64 v[28:31], v225 offset0:20 offset1:25
	;; [unrolled: 1-line block ×5, first 2 shown]
	s_waitcnt lgkmcnt(0)
	; wave barrier
	s_waitcnt lgkmcnt(0)
	ds_write2_b64 v225, v[110:111], v[120:121] offset1:5
	v_pk_add_f32 v[110:111], v[96:97], v[100:101]
	v_pk_add_f32 v[120:121], v[94:95], v[102:103] neg_lo:[0,1] neg_hi:[0,1]
	v_pk_fma_f32 v[110:111], v[110:111], 0.5, v[32:33] op_sel_hi:[1,0,1] neg_lo:[1,0,0] neg_hi:[1,0,0]
	v_pk_mul_f32 v[238:239], v[120:121], s[2:3] op_sel_hi:[1,0]
	v_pk_fma_f32 v[56:57], v[42:43], v[6:7], v[214:215] op_sel:[0,0,1] op_sel_hi:[1,1,0] neg_lo:[0,0,1] neg_hi:[0,0,1]
	v_pk_add_f32 v[244:245], v[110:111], v[238:239] op_sel:[0,1] op_sel_hi:[1,0] neg_lo:[0,1] neg_hi:[0,1]
	v_pk_add_f32 v[110:111], v[110:111], v[238:239] op_sel:[0,1] op_sel_hi:[1,0]
	v_pk_mul_f32 v[238:239], v[240:241], s[12:13] op_sel_hi:[1,0]
	v_pk_fma_f32 v[42:43], v[42:43], v[6:7], v[214:215] op_sel:[0,0,1] op_sel_hi:[1,0,0]
	v_pk_add_f32 v[110:111], v[110:111], v[238:239] op_sel:[0,1] op_sel_hi:[1,0]
	v_pk_add_f32 v[238:239], v[244:245], v[238:239] op_sel:[0,1] op_sel_hi:[1,0] neg_lo:[0,1] neg_hi:[0,1]
	v_mov_b32_e32 v245, v111
	v_mov_b32_e32 v111, v239
	v_pk_fma_f32 v[110:111], v[242:243], s[14:15], v[110:111] op_sel_hi:[1,0,1]
	ds_write2_b64 v225, v[108:109], v[110:111] offset0:10 offset1:15
	v_pk_add_f32 v[108:109], v[94:95], v[102:103]
	v_pk_add_f32 v[94:95], v[96:97], v[94:95] neg_lo:[0,1] neg_hi:[0,1]
	v_pk_add_f32 v[96:97], v[100:101], v[102:103] neg_lo:[0,1] neg_hi:[0,1]
	v_pk_fma_f32 v[32:33], v[108:109], 0.5, v[32:33] op_sel_hi:[1,0,1] neg_lo:[1,0,0] neg_hi:[1,0,0]
	v_pk_add_f32 v[94:95], v[94:95], v[96:97]
	v_pk_mul_f32 v[96:97], v[240:241], s[2:3] op_sel_hi:[1,0]
	v_pk_mul_f32 v[214:215], v[38:39], v[8:9] op_sel:[0,1]
	v_pk_mul_f32 v[100:101], v[120:121], s[12:13] op_sel_hi:[1,0]
	v_pk_add_f32 v[102:103], v[32:33], v[96:97] op_sel:[0,1] op_sel_hi:[1,0]
	v_pk_add_f32 v[32:33], v[32:33], v[96:97] op_sel:[0,1] op_sel_hi:[1,0] neg_lo:[0,1] neg_hi:[0,1]
	v_mov_b32_e32 v57, v43
	v_pk_fma_f32 v[42:43], v[38:39], v[8:9], v[214:215] op_sel:[0,0,1] op_sel_hi:[1,1,0] neg_lo:[0,0,1] neg_hi:[0,0,1]
	v_pk_fma_f32 v[38:39], v[38:39], v[8:9], v[214:215] op_sel:[0,0,1] op_sel_hi:[1,0,0]
	v_pk_add_f32 v[32:33], v[32:33], v[100:101] op_sel:[0,1] op_sel_hi:[1,0]
	v_pk_add_f32 v[96:97], v[102:103], v[100:101] op_sel:[0,1] op_sel_hi:[1,0] neg_lo:[0,1] neg_hi:[0,1]
	v_mov_b32_e32 v43, v39
	v_pk_mul_f32 v[38:39], v[34:35], v[198:199] op_sel_hi:[1,0]
	v_mov_b32_e32 v101, v33
	v_mov_b32_e32 v33, v97
	v_pk_fma_f32 v[214:215], v[34:35], v[10:11], v[38:39] op_sel:[0,0,1] op_sel_hi:[1,1,0] neg_lo:[0,0,1] neg_hi:[0,0,1]
	v_pk_fma_f32 v[34:35], v[34:35], v[10:11], v[38:39] op_sel:[0,0,1] op_sel_hi:[1,0,0]
	v_mov_b32_e32 v244, v238
	v_mov_b32_e32 v100, v96
	v_pk_fma_f32 v[32:33], v[94:95], s[14:15], v[32:33] op_sel_hi:[1,0,1]
	v_mov_b32_e32 v215, v35
	v_pk_fma_f32 v[244:245], v[242:243], s[14:15], v[244:245] op_sel_hi:[1,0,1]
	v_pk_fma_f32 v[100:101], v[94:95], s[14:15], v[100:101] op_sel_hi:[1,0,1]
	ds_write2_b64 v225, v[106:107], v[32:33] offset0:20 offset1:25
	ds_write2_b64 v225, v[104:105], v[100:101] offset0:30 offset1:35
	;; [unrolled: 1-line block ×3, first 2 shown]
	v_pk_add_f32 v[32:33], v[24:25], v[210:211]
	v_pk_add_f32 v[34:35], v[56:57], v[42:43]
	;; [unrolled: 1-line block ×4, first 2 shown]
	v_pk_fma_f32 v[34:35], v[34:35], 0.5, v[24:25] op_sel_hi:[1,0,1] neg_lo:[1,0,0] neg_hi:[1,0,0]
	v_pk_add_f32 v[218:219], v[56:57], v[42:43] neg_lo:[0,1] neg_hi:[0,1]
	v_pk_add_f32 v[226:227], v[210:211], v[56:57] neg_lo:[0,1] neg_hi:[0,1]
	v_pk_add_f32 v[234:235], v[214:215], v[42:43] neg_lo:[0,1] neg_hi:[0,1]
	v_pk_add_f32 v[32:33], v[32:33], v[42:43]
	v_pk_fma_f32 v[24:25], v[96:97], 0.5, v[24:25] op_sel_hi:[1,0,1] neg_lo:[1,0,0] neg_hi:[1,0,0]
	v_pk_add_f32 v[56:57], v[56:57], v[210:211] neg_lo:[0,1] neg_hi:[0,1]
	v_pk_add_f32 v[42:43], v[42:43], v[214:215] neg_lo:[0,1] neg_hi:[0,1]
	;; [unrolled: 1-line block ×3, first 2 shown]
	v_pk_add_f32 v[42:43], v[56:57], v[42:43]
	v_pk_fma_f32 v[56:57], v[218:219], s[2:3], v[24:25] op_sel:[1,0,0] op_sel_hi:[0,0,1]
	v_pk_fma_f32 v[24:25], v[218:219], s[2:3], v[24:25] op_sel:[1,0,0] op_sel_hi:[0,0,1] neg_lo:[1,0,0] neg_hi:[1,0,0]
	v_pk_add_f32 v[226:227], v[226:227], v[234:235]
	v_pk_fma_f32 v[234:235], v[38:39], s[2:3], v[34:35] op_sel:[1,0,0] op_sel_hi:[0,0,1] neg_lo:[1,0,0] neg_hi:[1,0,0]
	v_pk_fma_f32 v[34:35], v[38:39], s[2:3], v[34:35] op_sel:[1,0,0] op_sel_hi:[0,0,1]
	v_pk_fma_f32 v[24:25], v[38:39], s[12:13], v[24:25] op_sel:[1,0,0] op_sel_hi:[0,0,1]
	v_pk_fma_f32 v[38:39], v[38:39], s[12:13], v[56:57] op_sel:[1,0,0] op_sel_hi:[0,0,1] neg_lo:[1,0,0] neg_hi:[1,0,0]
	v_mov_b32_e32 v56, v38
	v_mov_b32_e32 v57, v25
	;; [unrolled: 1-line block ×3, first 2 shown]
	v_pk_add_f32 v[38:39], v[26:27], v[60:61]
	v_pk_mul_f32 v[76:77], v[116:117], v[20:21] op_sel:[0,1]
	v_pk_add_f32 v[38:39], v[38:39], v[58:59]
	v_pk_fma_f32 v[74:75], v[116:117], v[20:21], v[76:77] op_sel:[0,0,1] op_sel_hi:[1,1,0] neg_lo:[0,0,1] neg_hi:[0,0,1]
	v_pk_fma_f32 v[76:77], v[116:117], v[20:21], v[76:77] op_sel:[0,0,1] op_sel_hi:[1,0,0]
	v_pk_mul_f32 v[116:117], v[114:115], v[12:13] op_sel:[0,1]
	v_pk_add_f32 v[38:39], v[38:39], v[44:45]
	v_pk_fma_f32 v[112:113], v[114:115], v[12:13], v[116:117] op_sel:[0,0,1] op_sel_hi:[1,1,0] neg_lo:[0,0,1] neg_hi:[0,0,1]
	v_pk_fma_f32 v[114:115], v[114:115], v[12:13], v[116:117] op_sel:[0,0,1] op_sel_hi:[1,0,0]
	v_pk_mul_f32 v[116:117], v[122:123], v[216:217] op_sel_hi:[1,0]
	v_pk_add_f32 v[32:33], v[32:33], v[214:215]
	v_pk_add_f32 v[38:39], v[38:39], v[62:63]
	v_mov_b32_e32 v69, v71
	v_mov_b32_e32 v113, v115
	v_pk_fma_f32 v[114:115], v[122:123], v[14:15], v[116:117] op_sel:[0,0,1] op_sel_hi:[1,1,0] neg_lo:[0,0,1] neg_hi:[0,0,1]
	v_pk_fma_f32 v[116:117], v[122:123], v[14:15], v[116:117] op_sel:[0,0,1] op_sel_hi:[1,0,0]
	v_pk_fma_f32 v[24:25], v[42:43], s[14:15], v[24:25] op_sel_hi:[1,0,1]
	ds_write2_b64 v225, v[32:33], v[38:39] offset0:50 offset1:55
	v_pk_fma_f32 v[32:33], v[66:67], s[14:15], v[68:69] op_sel_hi:[1,0,1]
	v_mov_b32_e32 v115, v117
	v_pk_mul_f32 v[116:117], v[126:127], v[134:135] op_sel:[0,1]
	v_pk_fma_f32 v[56:57], v[42:43], s[14:15], v[56:57] op_sel_hi:[1,0,1]
	ds_write2_b64 v225, v[24:25], v[32:33] offset0:70 offset1:75
	ds_write2_b64 v225, v[56:57], v[64:65] offset0:80 offset1:85
	v_pk_add_f32 v[24:25], v[58:59], v[44:45]
	v_pk_fma_f32 v[118:119], v[126:127], v[134:135], v[116:117] op_sel:[0,0,1] op_sel_hi:[1,1,0] neg_lo:[0,0,1] neg_hi:[0,0,1]
	v_pk_fma_f32 v[116:117], v[126:127], v[134:135], v[116:117] op_sel:[0,0,1] op_sel_hi:[1,0,0]
	v_pk_fma_f32 v[24:25], v[24:25], 0.5, v[26:27] op_sel_hi:[1,0,1] neg_lo:[1,0,0] neg_hi:[1,0,0]
	v_pk_add_f32 v[26:27], v[60:61], v[58:59] neg_lo:[0,1] neg_hi:[0,1]
	v_pk_add_f32 v[32:33], v[62:63], v[44:45] neg_lo:[0,1] neg_hi:[0,1]
	v_pk_mul_f32 v[78:79], v[124:125], v[208:209] op_sel_hi:[1,0]
	v_mov_b32_e32 v119, v117
	v_pk_mul_f32 v[116:117], v[130:131], v[212:213] op_sel_hi:[1,0]
	v_pk_add_f32 v[26:27], v[26:27], v[32:33]
	v_pk_fma_f32 v[32:33], v[40:41], s[2:3], v[24:25] op_sel:[1,0,0] op_sel_hi:[0,0,1] neg_lo:[1,0,0] neg_hi:[1,0,0]
	v_pk_fma_f32 v[24:25], v[40:41], s[2:3], v[24:25] op_sel:[1,0,0] op_sel_hi:[0,0,1]
	v_mov_b32_e32 v75, v77
	v_pk_fma_f32 v[76:77], v[124:125], v[22:23], v[78:79] op_sel:[0,0,1] op_sel_hi:[1,1,0] neg_lo:[0,0,1] neg_hi:[0,0,1]
	v_pk_fma_f32 v[78:79], v[124:125], v[22:23], v[78:79] op_sel:[0,0,1] op_sel_hi:[1,0,0]
	v_pk_mul_f32 v[80:81], v[128:129], v[16:17] op_sel:[0,1]
	v_pk_fma_f32 v[126:127], v[130:131], v[136:137], v[116:117] op_sel:[0,0,1] op_sel_hi:[1,1,0] neg_lo:[0,0,1] neg_hi:[0,0,1]
	v_pk_fma_f32 v[116:117], v[130:131], v[136:137], v[116:117] op_sel:[0,0,1] op_sel_hi:[1,0,0]
	v_pk_fma_f32 v[236:237], v[218:219], s[12:13], v[34:35] op_sel:[1,0,0] op_sel_hi:[0,0,1]
	v_pk_fma_f32 v[234:235], v[218:219], s[12:13], v[234:235] op_sel:[1,0,0] op_sel_hi:[0,0,1] neg_lo:[1,0,0] neg_hi:[1,0,0]
	v_pk_fma_f32 v[24:25], v[36:37], s[12:13], v[24:25] op_sel:[1,0,0] op_sel_hi:[0,0,1]
	v_pk_fma_f32 v[32:33], v[36:37], s[12:13], v[32:33] op_sel:[1,0,0] op_sel_hi:[0,0,1] neg_lo:[1,0,0] neg_hi:[1,0,0]
	v_mov_b32_e32 v77, v79
	v_pk_fma_f32 v[78:79], v[128:129], v[16:17], v[80:81] op_sel:[0,0,1] op_sel_hi:[1,1,0] neg_lo:[0,0,1] neg_hi:[0,0,1]
	v_pk_fma_f32 v[80:81], v[128:129], v[16:17], v[80:81] op_sel:[0,0,1] op_sel_hi:[1,0,0]
	v_mov_b32_e32 v127, v117
	v_pk_add_f32 v[116:117], v[114:115], v[118:119]
	v_mov_b32_e32 v35, v237
	v_mov_b32_e32 v237, v235
	;; [unrolled: 1-line block ×5, first 2 shown]
	v_pk_mul_f32 v[80:81], v[132:133], v[202:203] op_sel_hi:[1,0]
	v_pk_fma_f32 v[116:117], v[116:117], 0.5, v[28:29] op_sel_hi:[1,0,1] neg_lo:[1,0,0] neg_hi:[1,0,0]
	v_pk_add_f32 v[122:123], v[112:113], v[126:127] neg_lo:[0,1] neg_hi:[0,1]
	v_mov_b32_e32 v34, v234
	v_pk_fma_f32 v[94:95], v[226:227], s[14:15], v[236:237] op_sel_hi:[1,0,1]
	v_mov_b32_e32 v36, v32
	v_pk_fma_f32 v[24:25], v[26:27], s[14:15], v[24:25] op_sel_hi:[1,0,1]
	v_pk_fma_f32 v[82:83], v[132:133], v[18:19], v[80:81] op_sel:[0,0,1] op_sel_hi:[1,1,0] neg_lo:[0,0,1] neg_hi:[0,0,1]
	v_pk_fma_f32 v[80:81], v[132:133], v[18:19], v[80:81] op_sel:[0,0,1] op_sel_hi:[1,0,0]
	v_pk_add_f32 v[124:125], v[114:115], v[118:119] neg_lo:[0,1] neg_hi:[0,1]
	v_pk_add_f32 v[128:129], v[112:113], v[114:115] neg_lo:[0,1] neg_hi:[0,1]
	;; [unrolled: 1-line block ×3, first 2 shown]
	v_pk_fma_f32 v[132:133], v[122:123], s[2:3], v[116:117] op_sel:[1,0,0] op_sel_hi:[0,0,1] neg_lo:[1,0,0] neg_hi:[1,0,0]
	v_pk_fma_f32 v[116:117], v[122:123], s[2:3], v[116:117] op_sel:[1,0,0] op_sel_hi:[0,0,1]
	v_pk_fma_f32 v[34:35], v[226:227], s[14:15], v[34:35] op_sel_hi:[1,0,1]
	v_pk_fma_f32 v[36:37], v[26:27], s[14:15], v[36:37] op_sel_hi:[1,0,1]
	ds_write2_b64 v225, v[94:95], v[24:25] offset0:60 offset1:65
	ds_write2_b64 v225, v[34:35], v[36:37] offset0:90 offset1:95
	v_pk_add_f32 v[24:25], v[28:29], v[112:113]
	v_pk_add_f32 v[128:129], v[128:129], v[130:131]
	v_pk_fma_f32 v[130:131], v[124:125], s[12:13], v[116:117] op_sel:[1,0,0] op_sel_hi:[0,0,1]
	v_pk_fma_f32 v[132:133], v[124:125], s[12:13], v[132:133] op_sel:[1,0,0] op_sel_hi:[0,0,1] neg_lo:[1,0,0] neg_hi:[1,0,0]
	v_pk_add_f32 v[24:25], v[24:25], v[114:115]
	v_mov_b32_e32 v117, v131
	v_pk_add_f32 v[24:25], v[24:25], v[118:119]
	v_mov_b32_e32 v131, v133
	v_pk_add_f32 v[24:25], v[24:25], v[126:127]
	v_pk_fma_f32 v[26:27], v[128:129], s[14:15], v[130:131] op_sel_hi:[1,0,1]
	ds_write2_b64 v143, v[24:25], v[26:27] offset0:100 offset1:110
	v_pk_add_f32 v[24:25], v[112:113], v[126:127]
	v_pk_add_f32 v[26:27], v[114:115], v[112:113] neg_lo:[0,1] neg_hi:[0,1]
	v_pk_fma_f32 v[24:25], v[24:25], 0.5, v[28:29] op_sel_hi:[1,0,1] neg_lo:[1,0,0] neg_hi:[1,0,0]
	v_pk_add_f32 v[28:29], v[118:119], v[126:127] neg_lo:[0,1] neg_hi:[0,1]
	v_mov_b32_e32 v83, v81
	v_pk_add_f32 v[26:27], v[26:27], v[28:29]
	v_pk_fma_f32 v[28:29], v[124:125], s[2:3], v[24:25] op_sel:[1,0,0] op_sel_hi:[0,0,1]
	v_pk_fma_f32 v[24:25], v[124:125], s[2:3], v[24:25] op_sel:[1,0,0] op_sel_hi:[0,0,1] neg_lo:[1,0,0] neg_hi:[1,0,0]
	v_pk_fma_f32 v[24:25], v[122:123], s[12:13], v[24:25] op_sel:[1,0,0] op_sel_hi:[0,0,1]
	v_pk_fma_f32 v[28:29], v[122:123], s[12:13], v[28:29] op_sel:[1,0,0] op_sel_hi:[0,0,1] neg_lo:[1,0,0] neg_hi:[1,0,0]
	v_pk_add_f32 v[80:81], v[76:77], v[78:79]
	v_mov_b32_e32 v32, v28
	v_mov_b32_e32 v33, v25
	v_mov_b32_e32 v25, v29
	v_pk_fma_f32 v[86:87], v[80:81], 0.5, v[30:31] op_sel_hi:[1,0,1] neg_lo:[1,0,0] neg_hi:[1,0,0]
	v_pk_add_f32 v[80:81], v[74:75], v[82:83] neg_lo:[0,1] neg_hi:[0,1]
	v_mov_b32_e32 v116, v132
	v_pk_fma_f32 v[32:33], v[26:27], s[14:15], v[32:33] op_sel_hi:[1,0,1]
	v_pk_fma_f32 v[24:25], v[26:27], s[14:15], v[24:25] op_sel_hi:[1,0,1]
	v_pk_add_f32 v[84:85], v[76:77], v[78:79] neg_lo:[0,1] neg_hi:[0,1]
	v_pk_add_f32 v[88:89], v[74:75], v[76:77] neg_lo:[0,1] neg_hi:[0,1]
	;; [unrolled: 1-line block ×3, first 2 shown]
	v_pk_fma_f32 v[92:93], v[80:81], s[2:3], v[86:87] op_sel:[1,0,0] op_sel_hi:[0,0,1] neg_lo:[1,0,0] neg_hi:[1,0,0]
	v_pk_fma_f32 v[86:87], v[80:81], s[2:3], v[86:87] op_sel:[1,0,0] op_sel_hi:[0,0,1]
	v_pk_fma_f32 v[116:117], v[128:129], s[14:15], v[116:117] op_sel_hi:[1,0,1]
	ds_write2_b64 v143, v[24:25], v[32:33] offset0:120 offset1:130
	ds_write_b64 v143, v[116:117] offset:1120
	v_pk_add_f32 v[24:25], v[30:31], v[74:75]
	v_pk_add_f32 v[88:89], v[88:89], v[90:91]
	v_pk_fma_f32 v[90:91], v[84:85], s[12:13], v[86:87] op_sel:[1,0,0] op_sel_hi:[0,0,1]
	v_pk_fma_f32 v[92:93], v[84:85], s[12:13], v[92:93] op_sel:[1,0,0] op_sel_hi:[0,0,1] neg_lo:[1,0,0] neg_hi:[1,0,0]
	v_pk_add_f32 v[24:25], v[24:25], v[76:77]
	v_mov_b32_e32 v87, v91
	v_pk_add_f32 v[24:25], v[24:25], v[78:79]
	v_mov_b32_e32 v91, v93
	v_pk_add_f32 v[24:25], v[24:25], v[82:83]
	v_pk_fma_f32 v[26:27], v[88:89], s[14:15], v[90:91] op_sel_hi:[1,0,1]
	ds_write2_b64 v11, v[24:25], v[26:27] offset0:100 offset1:110
	v_pk_add_f32 v[24:25], v[74:75], v[82:83]
	v_pk_add_f32 v[26:27], v[76:77], v[74:75] neg_lo:[0,1] neg_hi:[0,1]
	v_pk_fma_f32 v[24:25], v[24:25], 0.5, v[30:31] op_sel_hi:[1,0,1] neg_lo:[1,0,0] neg_hi:[1,0,0]
	v_pk_add_f32 v[28:29], v[78:79], v[82:83] neg_lo:[0,1] neg_hi:[0,1]
	v_mov_b32_e32 v86, v92
	v_pk_add_f32 v[26:27], v[26:27], v[28:29]
	v_pk_fma_f32 v[28:29], v[84:85], s[2:3], v[24:25] op_sel:[1,0,0] op_sel_hi:[0,0,1]
	v_pk_fma_f32 v[24:25], v[84:85], s[2:3], v[24:25] op_sel:[1,0,0] op_sel_hi:[0,0,1] neg_lo:[1,0,0] neg_hi:[1,0,0]
	v_pk_fma_f32 v[24:25], v[80:81], s[12:13], v[24:25] op_sel:[1,0,0] op_sel_hi:[0,0,1]
	v_pk_fma_f32 v[28:29], v[80:81], s[12:13], v[28:29] op_sel:[1,0,0] op_sel_hi:[0,0,1] neg_lo:[1,0,0] neg_hi:[1,0,0]
	v_mov_b32_e32 v30, v28
	v_mov_b32_e32 v31, v25
	;; [unrolled: 1-line block ×3, first 2 shown]
	v_pk_fma_f32 v[30:31], v[26:27], s[14:15], v[30:31] op_sel_hi:[1,0,1]
	v_pk_fma_f32 v[24:25], v[26:27], s[14:15], v[24:25] op_sel_hi:[1,0,1]
	;; [unrolled: 1-line block ×3, first 2 shown]
	ds_write2_b64 v11, v[24:25], v[30:31] offset0:120 offset1:130
	ds_write_b64 v11, v[86:87] offset:1120
	s_waitcnt lgkmcnt(0)
	; wave barrier
	s_waitcnt lgkmcnt(0)
	global_load_dwordx4 v[68:71], v213, s[10:11] offset:320
	global_load_dwordx4 v[64:67], v0, s[10:11] offset:320
	v_lshlrev_b32_e32 v0, 4, v209
	global_load_dwordx4 v[60:63], v0, s[10:11] offset:320
	v_add_u32_e32 v0, 0xf0, v213
	global_load_dwordx4 v[56:59], v0, s[10:11] offset:320
	v_lshlrev_b32_e32 v0, 4, v46
	global_load_dwordx4 v[44:47], v0, s[10:11] offset:320
	v_lshlrev_b32_e32 v0, 4, v72
	global_load_dwordx4 v[40:43], v0, s[10:11] offset:320
	v_add_u32_e32 v0, 0x1e0, v213
	global_load_dwordx4 v[36:39], v0, s[10:11] offset:320
	v_add_u32_e32 v0, 0x230, v213
	global_load_dwordx4 v[32:35], v0, s[10:11] offset:320
	v_lshlrev_b32_e32 v0, 4, v220
	global_load_dwordx4 v[28:31], v0, s[10:11] offset:320
	v_add_u32_e32 v0, 0x2d0, v213
	global_load_dwordx4 v[24:27], v0, s[10:11] offset:320
	ds_read2_b64 v[74:77], v225 offset0:50 offset1:55
	ds_read2_b64 v[78:81], v225 offset0:100 offset1:105
	;; [unrolled: 1-line block ×6, first 2 shown]
	s_mov_b32 s10, 0x3f5db3d7
	s_waitcnt vmcnt(9) lgkmcnt(5)
	v_pk_mul_f32 v[82:83], v[74:75], v[68:69] op_sel:[0,1]
	s_nop 0
	v_pk_fma_f32 v[210:211], v[74:75], v[68:69], v[82:83] op_sel:[0,0,1] op_sel_hi:[1,0,0]
	v_pk_fma_f32 v[72:73], v[74:75], v[68:69], v[82:83] op_sel:[0,0,1] op_sel_hi:[1,1,0] neg_lo:[0,0,1] neg_hi:[0,0,1]
	v_mov_b32_e32 v210, v71
	s_waitcnt lgkmcnt(4)
	v_pk_mul_f32 v[82:83], v[78:79], v[210:211] op_sel_hi:[1,0]
	s_waitcnt vmcnt(6)
	v_mov_b32_e32 v0, v59
	v_pk_fma_f32 v[74:75], v[78:79], v[70:71], v[82:83] op_sel:[0,0,1] op_sel_hi:[1,1,0] neg_lo:[0,0,1] neg_hi:[0,0,1]
	v_pk_fma_f32 v[214:215], v[78:79], v[70:71], v[82:83] op_sel:[0,0,1] op_sel_hi:[1,0,0]
	v_pk_mul_f32 v[82:83], v[76:77], v[64:65] op_sel:[0,1]
	v_mov_b32_e32 v214, v63
	v_pk_fma_f32 v[78:79], v[76:77], v[64:65], v[82:83] op_sel:[0,0,1] op_sel_hi:[1,1,0] neg_lo:[0,0,1] neg_hi:[0,0,1]
	v_pk_fma_f32 v[218:219], v[76:77], v[64:65], v[82:83] op_sel:[0,0,1] op_sel_hi:[1,0,0]
	ds_read2_b64 v[82:85], v225 offset0:60 offset1:65
	v_mov_b32_e32 v218, v67
	v_pk_mul_f32 v[76:77], v[80:81], v[218:219] op_sel_hi:[1,0]
	s_waitcnt vmcnt(4)
	v_mov_b32_e32 v224, v43
	v_pk_fma_f32 v[90:91], v[80:81], v[66:67], v[76:77] op_sel:[0,0,1] op_sel_hi:[1,1,0] neg_lo:[0,0,1] neg_hi:[0,0,1]
	v_pk_fma_f32 v[238:239], v[80:81], v[66:67], v[76:77] op_sel:[0,0,1] op_sel_hi:[1,0,0]
	s_waitcnt lgkmcnt(0)
	v_pk_mul_f32 v[76:77], v[82:83], v[60:61] op_sel:[0,1]
	s_waitcnt vmcnt(2)
	v_pk_mul_f32 v[114:115], v[236:237], v[32:33] op_sel:[0,1]
	v_pk_fma_f32 v[80:81], v[82:83], v[60:61], v[76:77] op_sel:[0,0,1] op_sel_hi:[1,1,0] neg_lo:[0,0,1] neg_hi:[0,0,1]
	v_pk_fma_f32 v[98:99], v[82:83], v[60:61], v[76:77] op_sel:[0,0,1] op_sel_hi:[1,0,0]
	v_pk_mul_f32 v[76:77], v[86:87], v[214:215] op_sel_hi:[1,0]
	v_pk_fma_f32 v[254:255], v[236:237], v[32:33], v[114:115] op_sel:[0,0,1] op_sel_hi:[1,0,0]
	v_pk_fma_f32 v[82:83], v[86:87], v[62:63], v[76:77] op_sel:[0,0,1] op_sel_hi:[1,1,0] neg_lo:[0,0,1] neg_hi:[0,0,1]
	v_pk_fma_f32 v[100:101], v[86:87], v[62:63], v[76:77] op_sel:[0,0,1] op_sel_hi:[1,0,0]
	v_pk_mul_f32 v[86:87], v[84:85], v[56:57] op_sel:[0,1]
	v_mov_b32_e32 v73, v211
	v_pk_fma_f32 v[76:77], v[84:85], v[56:57], v[86:87] op_sel:[0,0,1] op_sel_hi:[1,1,0] neg_lo:[0,0,1] neg_hi:[0,0,1]
	v_pk_fma_f32 v[94:95], v[84:85], v[56:57], v[86:87] op_sel:[0,0,1] op_sel_hi:[1,0,0]
	v_pk_mul_f32 v[84:85], v[88:89], v[0:1] op_sel_hi:[1,0]
	v_mov_b32_e32 v0, v47
	v_pk_fma_f32 v[92:93], v[88:89], v[58:59], v[84:85] op_sel:[0,0,1] op_sel_hi:[1,1,0] neg_lo:[0,0,1] neg_hi:[0,0,1]
	v_pk_fma_f32 v[116:117], v[88:89], v[58:59], v[84:85] op_sel:[0,0,1] op_sel_hi:[1,0,0]
	v_pk_mul_f32 v[84:85], v[104:105], v[44:45] op_sel:[0,1]
	v_mov_b32_e32 v75, v215
	v_pk_fma_f32 v[86:87], v[104:105], v[44:45], v[84:85] op_sel:[0,0,1] op_sel_hi:[1,1,0] neg_lo:[0,0,1] neg_hi:[0,0,1]
	v_pk_fma_f32 v[122:123], v[104:105], v[44:45], v[84:85] op_sel:[0,0,1] op_sel_hi:[1,0,0]
	v_pk_mul_f32 v[84:85], v[118:119], v[0:1] op_sel_hi:[1,0]
	v_pk_mul_f32 v[104:105], v[106:107], v[40:41] op_sel:[0,1]
	v_pk_fma_f32 v[88:89], v[118:119], v[46:47], v[84:85] op_sel:[0,0,1] op_sel_hi:[1,1,0] neg_lo:[0,0,1] neg_hi:[0,0,1]
	v_pk_fma_f32 v[124:125], v[118:119], v[46:47], v[84:85] op_sel:[0,0,1] op_sel_hi:[1,0,0]
	v_pk_fma_f32 v[84:85], v[106:107], v[40:41], v[104:105] op_sel:[0,0,1] op_sel_hi:[1,1,0] neg_lo:[0,0,1] neg_hi:[0,0,1]
	v_pk_fma_f32 v[130:131], v[106:107], v[40:41], v[104:105] op_sel:[0,0,1] op_sel_hi:[1,0,0]
	v_pk_mul_f32 v[104:105], v[120:121], v[224:225] op_sel_hi:[1,0]
	s_waitcnt vmcnt(1)
	v_mov_b32_e32 v0, v31
	v_pk_fma_f32 v[110:111], v[120:121], v[42:43], v[104:105] op_sel:[0,0,1] op_sel_hi:[1,1,0] neg_lo:[0,0,1] neg_hi:[0,0,1]
	v_pk_fma_f32 v[226:227], v[120:121], v[42:43], v[104:105] op_sel:[0,0,1] op_sel_hi:[1,0,0]
	ds_read2_b64 v[118:121], v225 offset0:130 offset1:135
	v_pk_mul_f32 v[104:105], v[234:235], v[36:37] op_sel:[0,1]
	v_mov_b32_e32 v226, v39
	v_pk_fma_f32 v[106:107], v[234:235], v[36:37], v[104:105] op_sel:[0,0,1] op_sel_hi:[1,1,0] neg_lo:[0,0,1] neg_hi:[0,0,1]
	v_pk_fma_f32 v[250:251], v[234:235], v[36:37], v[104:105] op_sel:[0,0,1] op_sel_hi:[1,0,0]
	s_waitcnt lgkmcnt(0)
	v_pk_mul_f32 v[104:105], v[118:119], v[226:227] op_sel_hi:[1,0]
	v_mov_b32_e32 v250, v35
	v_pk_fma_f32 v[108:109], v[118:119], v[38:39], v[104:105] op_sel:[0,0,1] op_sel_hi:[1,1,0] neg_lo:[0,0,1] neg_hi:[0,0,1]
	v_pk_fma_f32 v[252:253], v[118:119], v[38:39], v[104:105] op_sel:[0,0,1] op_sel_hi:[1,0,0]
	v_pk_fma_f32 v[104:105], v[236:237], v[32:33], v[114:115] op_sel:[0,0,1] op_sel_hi:[1,1,0] neg_lo:[0,0,1] neg_hi:[0,0,1]
	ds_read2_b64 v[234:237], v225 offset0:90 offset1:95
	v_pk_mul_f32 v[118:119], v[120:121], v[250:251] op_sel_hi:[1,0]
	s_waitcnt vmcnt(0)
	v_mov_b32_e32 v252, v27
	v_pk_fma_f32 v[114:115], v[120:121], v[34:35], v[118:119] op_sel:[0,0,1] op_sel_hi:[1,1,0] neg_lo:[0,0,1] neg_hi:[0,0,1]
	v_pk_fma_f32 v[96:97], v[120:121], v[34:35], v[118:119] op_sel:[0,0,1] op_sel_hi:[1,0,0]
	s_waitcnt lgkmcnt(0)
	v_pk_mul_f32 v[120:121], v[234:235], v[28:29] op_sel:[0,1]
	v_pk_mul_f32 v[128:129], v[236:237], v[24:25] op_sel:[0,1]
	v_pk_fma_f32 v[118:119], v[234:235], v[28:29], v[120:121] op_sel:[0,0,1] op_sel_hi:[1,1,0] neg_lo:[0,0,1] neg_hi:[0,0,1]
	v_pk_fma_f32 v[102:103], v[234:235], v[28:29], v[120:121] op_sel:[0,0,1] op_sel_hi:[1,0,0]
	v_pk_fma_f32 v[120:121], v[236:237], v[24:25], v[128:129] op_sel:[0,0,1] op_sel_hi:[1,1,0] neg_lo:[0,0,1] neg_hi:[0,0,1]
	v_pk_fma_f32 v[112:113], v[236:237], v[24:25], v[128:129] op_sel:[0,0,1] op_sel_hi:[1,0,0]
	ds_read2_b64 v[234:237], v225 offset0:140 offset1:145
	v_mov_b32_e32 v91, v239
	v_pk_add_f32 v[238:239], v[72:73], v[74:75]
	v_mov_b32_e32 v79, v219
	v_mov_b32_e32 v81, v99
	s_waitcnt lgkmcnt(0)
	v_pk_mul_f32 v[128:129], v[234:235], v[0:1] op_sel_hi:[1,0]
	v_mov_b32_e32 v83, v101
	v_pk_fma_f32 v[132:133], v[234:235], v[30:31], v[128:129] op_sel:[0,0,1] op_sel_hi:[1,1,0] neg_lo:[0,0,1] neg_hi:[0,0,1]
	v_pk_fma_f32 v[126:127], v[234:235], v[30:31], v[128:129] op_sel:[0,0,1] op_sel_hi:[1,0,0]
	v_pk_mul_f32 v[234:235], v[236:237], v[252:253] op_sel_hi:[1,0]
	v_pk_add_f32 v[98:99], v[80:81], v[82:83] neg_lo:[0,1] neg_hi:[0,1]
	v_pk_fma_f32 v[128:129], v[236:237], v[26:27], v[234:235] op_sel:[0,0,1] op_sel_hi:[1,1,0] neg_lo:[0,0,1] neg_hi:[0,0,1]
	v_pk_fma_f32 v[0:1], v[236:237], v[26:27], v[234:235] op_sel:[0,0,1] op_sel_hi:[1,0,0]
	ds_read2_b64 v[234:237], v225 offset1:5
	v_pk_mul_f32 v[98:99], v[98:99], s[10:11] op_sel_hi:[1,0]
	v_mov_b32_e32 v77, v95
	v_mov_b32_e32 v93, v117
	;; [unrolled: 1-line block ×3, first 2 shown]
	s_waitcnt lgkmcnt(0)
	v_pk_add_f32 v[2:3], v[234:235], v[72:73]
	v_pk_add_f32 v[72:73], v[72:73], v[74:75] neg_lo:[0,1] neg_hi:[0,1]
	v_pk_add_f32 v[2:3], v[2:3], v[74:75]
	v_pk_fma_f32 v[74:75], v[238:239], 0.5, v[234:235] op_sel_hi:[1,0,1] neg_lo:[1,0,0] neg_hi:[1,0,0]
	v_pk_mul_f32 v[72:73], v[72:73], s[10:11] op_sel_hi:[1,0]
	v_mov_b32_e32 v89, v125
	v_pk_add_f32 v[228:229], v[74:75], v[72:73] op_sel:[0,1] op_sel_hi:[1,0]
	v_pk_add_f32 v[234:235], v[74:75], v[72:73] op_sel:[0,1] op_sel_hi:[1,0] neg_lo:[0,1] neg_hi:[0,1]
	v_mov_b32_e32 v220, v228
	v_mov_b32_e32 v221, v235
	ds_read2_b64 v[238:241], v225 offset0:10 offset1:15
	ds_read2_b64 v[242:245], v225 offset0:20 offset1:25
	;; [unrolled: 1-line block ×4, first 2 shown]
	ds_write_b64 v225, v[220:221] offset:400
	v_pk_add_f32 v[220:221], v[236:237], v[78:79]
	v_mov_b32_e32 v235, v229
	v_pk_add_f32 v[220:221], v[220:221], v[90:91]
	ds_write_b64 v225, v[234:235] offset:800
	ds_write2_b64 v225, v[2:3], v[220:221] offset1:5
	v_pk_add_f32 v[2:3], v[78:79], v[90:91]
	v_pk_add_f32 v[78:79], v[78:79], v[90:91] neg_lo:[0,1] neg_hi:[0,1]
	v_pk_fma_f32 v[2:3], v[2:3], 0.5, v[236:237] op_sel_hi:[1,0,1] neg_lo:[1,0,0] neg_hi:[1,0,0]
	v_pk_mul_f32 v[78:79], v[78:79], s[10:11] op_sel_hi:[1,0]
	v_mov_b32_e32 v85, v131
	v_pk_add_f32 v[90:91], v[2:3], v[78:79] op_sel:[0,1] op_sel_hi:[1,0]
	v_pk_add_f32 v[2:3], v[2:3], v[78:79] op_sel:[0,1] op_sel_hi:[1,0] neg_lo:[0,1] neg_hi:[0,1]
	v_pk_add_f32 v[78:79], v[80:81], v[82:83]
	s_waitcnt lgkmcnt(6)
	v_pk_add_f32 v[80:81], v[238:239], v[80:81]
	v_pk_fma_f32 v[78:79], v[78:79], 0.5, v[238:239] op_sel_hi:[1,0,1] neg_lo:[1,0,0] neg_hi:[1,0,0]
	v_pk_add_f32 v[80:81], v[80:81], v[82:83]
	v_pk_add_f32 v[100:101], v[78:79], v[98:99] op_sel:[0,1] op_sel_hi:[1,0]
	v_pk_add_f32 v[78:79], v[78:79], v[98:99] op_sel:[0,1] op_sel_hi:[1,0] neg_lo:[0,1] neg_hi:[0,1]
	v_mov_b32_e32 v98, v90
	v_mov_b32_e32 v99, v3
	;; [unrolled: 1-line block ×4, first 2 shown]
	v_pk_add_f32 v[82:83], v[240:241], v[76:77]
	v_mov_b32_e32 v3, v91
	v_mov_b32_e32 v79, v101
	ds_write2_b64 v225, v[98:99], v[220:221] offset0:55 offset1:60
	v_pk_add_f32 v[82:83], v[82:83], v[92:93]
	ds_write2_b64 v225, v[2:3], v[78:79] offset0:105 offset1:110
	ds_write2_b64 v225, v[80:81], v[82:83] offset0:10 offset1:15
	v_pk_add_f32 v[2:3], v[76:77], v[92:93]
	v_pk_add_f32 v[76:77], v[76:77], v[92:93] neg_lo:[0,1] neg_hi:[0,1]
	v_pk_fma_f32 v[2:3], v[2:3], 0.5, v[240:241] op_sel_hi:[1,0,1] neg_lo:[1,0,0] neg_hi:[1,0,0]
	v_pk_mul_f32 v[76:77], v[76:77], s[10:11] op_sel_hi:[1,0]
	v_pk_add_f32 v[80:81], v[86:87], v[88:89] neg_lo:[0,1] neg_hi:[0,1]
	v_pk_add_f32 v[78:79], v[2:3], v[76:77] op_sel:[0,1] op_sel_hi:[1,0]
	v_pk_add_f32 v[2:3], v[2:3], v[76:77] op_sel:[0,1] op_sel_hi:[1,0] neg_lo:[0,1] neg_hi:[0,1]
	v_mov_b32_e32 v76, v78
	v_mov_b32_e32 v77, v3
	;; [unrolled: 1-line block ×3, first 2 shown]
	v_pk_add_f32 v[78:79], v[86:87], v[88:89]
	v_pk_mul_f32 v[80:81], v[80:81], s[10:11] op_sel_hi:[1,0]
	s_waitcnt lgkmcnt(8)
	v_pk_fma_f32 v[78:79], v[78:79], 0.5, v[242:243] op_sel_hi:[1,0,1] neg_lo:[1,0,0] neg_hi:[1,0,0]
	v_mov_b32_e32 v111, v227
	v_pk_add_f32 v[82:83], v[78:79], v[80:81] op_sel:[0,1] op_sel_hi:[1,0]
	v_pk_add_f32 v[78:79], v[78:79], v[80:81] op_sel:[0,1] op_sel_hi:[1,0] neg_lo:[0,1] neg_hi:[0,1]
	v_mov_b32_e32 v115, v97
	v_pk_add_f32 v[94:95], v[242:243], v[86:87]
	v_pk_add_f32 v[96:97], v[244:245], v[84:85]
	v_mov_b32_e32 v80, v82
	v_mov_b32_e32 v81, v79
	;; [unrolled: 1-line block ×3, first 2 shown]
	v_pk_add_f32 v[94:95], v[94:95], v[88:89]
	v_pk_add_f32 v[96:97], v[96:97], v[110:111]
	ds_write2_b64 v225, v[76:77], v[80:81] offset0:65 offset1:70
	ds_write2_b64 v225, v[2:3], v[78:79] offset0:115 offset1:120
	;; [unrolled: 1-line block ×3, first 2 shown]
	v_pk_add_f32 v[2:3], v[84:85], v[110:111]
	v_pk_add_f32 v[76:77], v[84:85], v[110:111] neg_lo:[0,1] neg_hi:[0,1]
	v_pk_fma_f32 v[2:3], v[2:3], 0.5, v[244:245] op_sel_hi:[1,0,1] neg_lo:[1,0,0] neg_hi:[1,0,0]
	v_pk_mul_f32 v[76:77], v[76:77], s[10:11] op_sel_hi:[1,0]
	v_mov_b32_e32 v107, v251
	v_mov_b32_e32 v109, v253
	v_pk_add_f32 v[78:79], v[2:3], v[76:77] op_sel:[0,1] op_sel_hi:[1,0]
	v_pk_add_f32 v[2:3], v[2:3], v[76:77] op_sel:[0,1] op_sel_hi:[1,0] neg_lo:[0,1] neg_hi:[0,1]
	v_mov_b32_e32 v76, v78
	v_mov_b32_e32 v77, v3
	v_mov_b32_e32 v3, v79
	v_pk_add_f32 v[78:79], v[106:107], v[108:109]
	v_pk_add_f32 v[80:81], v[106:107], v[108:109] neg_lo:[0,1] neg_hi:[0,1]
	s_waitcnt lgkmcnt(10)
	v_pk_fma_f32 v[78:79], v[78:79], 0.5, v[246:247] op_sel_hi:[1,0,1] neg_lo:[1,0,0] neg_hi:[1,0,0]
	v_pk_mul_f32 v[80:81], v[80:81], s[10:11] op_sel_hi:[1,0]
	v_mov_b32_e32 v105, v255
	v_pk_add_f32 v[82:83], v[78:79], v[80:81] op_sel:[0,1] op_sel_hi:[1,0]
	v_pk_add_f32 v[78:79], v[78:79], v[80:81] op_sel:[0,1] op_sel_hi:[1,0] neg_lo:[0,1] neg_hi:[0,1]
	v_mov_b32_e32 v119, v103
	v_pk_add_f32 v[98:99], v[246:247], v[106:107]
	v_pk_add_f32 v[102:103], v[248:249], v[104:105]
	v_mov_b32_e32 v80, v82
	v_mov_b32_e32 v81, v79
	;; [unrolled: 1-line block ×3, first 2 shown]
	v_pk_add_f32 v[98:99], v[98:99], v[108:109]
	v_pk_add_f32 v[102:103], v[102:103], v[114:115]
	ds_write2_b64 v225, v[76:77], v[80:81] offset0:75 offset1:80
	ds_write2_b64 v225, v[2:3], v[78:79] offset0:125 offset1:130
	;; [unrolled: 1-line block ×3, first 2 shown]
	v_pk_add_f32 v[2:3], v[104:105], v[114:115]
	v_pk_add_f32 v[76:77], v[104:105], v[114:115] neg_lo:[0,1] neg_hi:[0,1]
	v_pk_fma_f32 v[2:3], v[2:3], 0.5, v[248:249] op_sel_hi:[1,0,1] neg_lo:[1,0,0] neg_hi:[1,0,0]
	v_pk_mul_f32 v[76:77], v[76:77], s[10:11] op_sel_hi:[1,0]
	v_mov_b32_e32 v133, v127
	v_pk_add_f32 v[78:79], v[2:3], v[76:77] op_sel:[0,1] op_sel_hi:[1,0]
	v_pk_add_f32 v[2:3], v[2:3], v[76:77] op_sel:[0,1] op_sel_hi:[1,0] neg_lo:[0,1] neg_hi:[0,1]
	v_mov_b32_e32 v76, v78
	v_mov_b32_e32 v77, v3
	;; [unrolled: 1-line block ×3, first 2 shown]
	v_pk_add_f32 v[78:79], v[118:119], v[132:133]
	v_mov_b32_e32 v129, v1
	s_waitcnt lgkmcnt(12)
	v_pk_add_f32 v[0:1], v[72:73], v[118:119]
	v_pk_fma_f32 v[72:73], v[78:79], 0.5, v[72:73] op_sel_hi:[1,0,1] neg_lo:[1,0,0] neg_hi:[1,0,0]
	v_pk_add_f32 v[78:79], v[118:119], v[132:133] neg_lo:[0,1] neg_hi:[0,1]
	v_mov_b32_e32 v121, v113
	v_pk_mul_f32 v[78:79], v[78:79], s[10:11] op_sel_hi:[1,0]
	v_pk_add_f32 v[0:1], v[0:1], v[132:133]
	v_pk_add_f32 v[80:81], v[72:73], v[78:79] op_sel:[0,1] op_sel_hi:[1,0]
	v_pk_add_f32 v[72:73], v[72:73], v[78:79] op_sel:[0,1] op_sel_hi:[1,0] neg_lo:[0,1] neg_hi:[0,1]
	v_pk_add_f32 v[90:91], v[74:75], v[120:121]
	v_mov_b32_e32 v78, v80
	v_mov_b32_e32 v79, v73
	;; [unrolled: 1-line block ×3, first 2 shown]
	v_pk_add_f32 v[90:91], v[90:91], v[128:129]
	ds_write2_b64 v225, v[76:77], v[78:79] offset0:85 offset1:90
	ds_write2_b64 v225, v[2:3], v[72:73] offset0:135 offset1:140
	ds_write2_b64 v225, v[0:1], v[90:91] offset0:40 offset1:45
	v_pk_add_f32 v[0:1], v[120:121], v[128:129]
	v_pk_add_f32 v[2:3], v[120:121], v[128:129] neg_lo:[0,1] neg_hi:[0,1]
	v_pk_fma_f32 v[0:1], v[0:1], 0.5, v[74:75] op_sel_hi:[1,0,1] neg_lo:[1,0,0] neg_hi:[1,0,0]
	v_pk_mul_f32 v[2:3], v[2:3], s[10:11] op_sel_hi:[1,0]
	v_accvgpr_write_b32 a6, v31
	v_pk_add_f32 v[72:73], v[0:1], v[2:3] op_sel:[0,1] op_sel_hi:[1,0]
	v_pk_add_f32 v[0:1], v[0:1], v[2:3] op_sel:[0,1] op_sel_hi:[1,0] neg_lo:[0,1] neg_hi:[0,1]
	v_mov_b32_e32 v2, v72
	v_mov_b32_e32 v3, v1
	;; [unrolled: 1-line block ×3, first 2 shown]
	ds_write_b64 v225, v[2:3] offset:760
	ds_write_b64 v225, v[0:1] offset:1160
	s_waitcnt lgkmcnt(0)
	; wave barrier
	s_waitcnt lgkmcnt(0)
	global_load_dwordx2 v[76:77], v203, s[8:9] offset:1200
	global_load_dwordx2 v[78:79], v203, s[18:19] offset:120
	;; [unrolled: 1-line block ×15, first 2 shown]
	ds_read2_b64 v[72:75], v225 offset1:5
	global_load_dwordx2 v[100:101], v203, s[18:19] offset:320
	global_load_dwordx2 v[108:109], v203, s[18:19] offset:200
	;; [unrolled: 1-line block ×5, first 2 shown]
	ds_read2_b64 v[112:115], v225 offset0:10 offset1:15
	ds_read2_b64 v[116:119], v225 offset0:30 offset1:35
	s_mov_b32 s8, 0xbf4f1bbd
	s_mov_b32 s9, s12
	s_waitcnt vmcnt(19) lgkmcnt(2)
	v_mul_f32_e32 v0, v73, v77
	v_mul_f32_e32 v1, v72, v77
	s_waitcnt vmcnt(18) lgkmcnt(1)
	v_mul_f32_e32 v7, v115, v79
	v_mul_f32_e32 v121, v114, v79
	v_fma_f32 v0, v72, v76, -v0
	v_fmac_f32_e32 v1, v73, v76
	v_fma_f32 v120, v114, v78, -v7
	v_fmac_f32_e32 v121, v115, v78
	ds_read2_b64 v[76:79], v225 offset0:60 offset1:65
	s_waitcnt vmcnt(17) lgkmcnt(1)
	v_mul_f32_e32 v7, v117, v81
	v_fma_f32 v122, v116, v80, -v7
	v_mul_f32_e32 v123, v116, v81
	v_fmac_f32_e32 v123, v117, v80
	s_waitcnt vmcnt(16) lgkmcnt(0)
	v_mul_f32_e32 v7, v77, v83
	v_mul_f32_e32 v127, v76, v83
	v_fma_f32 v126, v76, v82, -v7
	v_fmac_f32_e32 v127, v77, v82
	ds_read2_b64 v[80:83], v225 offset0:90 offset1:95
	s_waitcnt vmcnt(15)
	v_mul_f32_e32 v7, v75, v87
	v_fma_f32 v76, v74, v86, -v7
	v_mul_f32_e32 v77, v74, v87
	v_fmac_f32_e32 v77, v75, v86
	s_waitcnt vmcnt(14) lgkmcnt(0)
	v_mul_f32_e32 v7, v81, v85
	v_mul_f32_e32 v87, v80, v85
	v_fma_f32 v86, v80, v84, -v7
	v_fmac_f32_e32 v87, v81, v84
	s_waitcnt vmcnt(13)
	v_mul_f32_e32 v7, v119, v91
	v_mul_f32_e32 v81, v118, v91
	ds_read2_b64 v[114:117], v225 offset0:40 offset1:45
	global_load_dwordx2 v[128:129], v203, s[18:19] offset:800
	global_load_dwordx2 v[130:131], v203, s[18:19] offset:680
	v_fma_f32 v80, v118, v90, -v7
	v_fmac_f32_e32 v81, v119, v90
	global_load_dwordx2 v[90:91], v203, s[18:19] offset:640
	global_load_dwordx2 v[118:119], v203, s[18:19] offset:560
	ds_read2_b64 v[72:75], v225 offset0:120 offset1:125
	s_waitcnt vmcnt(16)
	v_mul_f32_e32 v7, v79, v95
	v_mul_f32_e32 v85, v78, v95
	ds_write2_b64 v225, v[0:1], v[76:77] offset1:5
	v_fma_f32 v84, v78, v94, -v7
	s_waitcnt vmcnt(14) lgkmcnt(1)
	v_mul_f32_e32 v27, v73, v93
	v_fma_f32 v132, v72, v92, -v27
	v_mul_f32_e32 v133, v72, v93
	s_waitcnt vmcnt(13)
	v_mul_f32_e32 v27, v83, v97
	v_mul_f32_e32 v93, v82, v97
	v_fmac_f32_e32 v85, v79, v94
	global_load_dwordx2 v[94:95], v203, s[18:19] offset:400
	global_load_dwordx2 v[0:1], v203, s[18:19] offset:920
	v_fmac_f32_e32 v133, v73, v92
	v_fma_f32 v92, v82, v96, -v27
	v_fmac_f32_e32 v93, v83, v96
	global_load_dwordx2 v[96:97], v203, s[18:19] offset:1120
	global_load_dwordx2 v[220:221], v203, s[18:19] offset:1040
	ds_read2_b64 v[76:79], v225 offset0:20 offset1:25
	s_waitcnt vmcnt(16)
	v_mul_f32_e32 v27, v75, v103
	v_fma_f32 v228, v74, v102, -v27
	v_mul_f32_e32 v229, v74, v103
	s_waitcnt vmcnt(14)
	v_mul_f32_e32 v27, v113, v107
	v_fmac_f32_e32 v229, v75, v102
	v_fma_f32 v102, v112, v106, -v27
	v_mul_f32_e32 v103, v112, v107
	s_waitcnt lgkmcnt(0)
	v_mul_f32_e32 v27, v77, v99
	ds_read2_b64 v[72:75], v225 offset0:70 offset1:75
	v_fmac_f32_e32 v103, v113, v106
	v_fma_f32 v112, v76, v98, -v27
	v_mul_f32_e32 v113, v76, v99
	s_waitcnt vmcnt(11)
	v_mul_f32_e32 v27, v79, v109
	v_mul_f32_e32 v99, v78, v109
	v_fmac_f32_e32 v113, v77, v98
	v_fma_f32 v98, v78, v108, -v27
	v_fmac_f32_e32 v99, v79, v108
	ds_read2_b64 v[76:79], v225 offset0:100 offset1:105
	v_mul_f32_e32 v7, v117, v89
	v_fma_f32 v106, v116, v88, -v7
	s_waitcnt lgkmcnt(1)
	v_mul_f32_e32 v7, v75, v105
	v_fma_f32 v108, v74, v104, -v7
	v_mul_f32_e32 v109, v74, v105
	s_waitcnt vmcnt(9) lgkmcnt(0)
	v_mul_f32_e32 v7, v79, v3
	v_mul_f32_e32 v105, v78, v3
	v_fmac_f32_e32 v109, v75, v104
	global_load_dwordx2 v[74:75], v203, s[18:19] offset:880
	v_fma_f32 v104, v78, v2, -v7
	v_fmac_f32_e32 v105, v79, v2
	global_load_dwordx2 v[2:3], v203, s[18:19] offset:1080
	ds_write2_b64 v225, v[122:123], v[80:81] offset0:30 offset1:35
	ds_read2_b64 v[78:81], v225 offset0:130 offset1:135
	v_mul_f32_e32 v107, v116, v89
	v_fmac_f32_e32 v107, v117, v88
	ds_write2_b64 v225, v[126:127], v[84:85] offset0:60 offset1:65
	ds_write2_b64 v225, v[86:87], v[92:93] offset0:90 offset1:95
	ds_read2_b64 v[84:87], v225 offset0:80 offset1:85
	ds_write2_b64 v225, v[132:133], v[228:229] offset0:120 offset1:125
	ds_write2_b64 v225, v[102:103], v[120:121] offset0:10 offset1:15
	;; [unrolled: 1-line block ×3, first 2 shown]
	s_mov_b32 s18, 0xbe9e377a
	s_mov_b32 s19, s2
	s_waitcnt vmcnt(0) lgkmcnt(6)
	v_mul_f32_e32 v7, v81, v3
	v_mul_f32_e32 v117, v80, v3
	v_fma_f32 v116, v80, v2, -v7
	v_fmac_f32_e32 v117, v81, v2
	ds_read2_b64 v[80:83], v225 offset0:50 offset1:55
	s_waitcnt lgkmcnt(4)
	v_mul_f32_e32 v7, v85, v91
	s_waitcnt lgkmcnt(0)
	v_mul_f32_e32 v3, v80, v95
	v_mul_f32_e32 v2, v81, v95
	v_fmac_f32_e32 v3, v81, v94
	v_mul_f32_e32 v81, v84, v91
	v_fma_f32 v2, v80, v94, -v2
	v_fma_f32 v80, v84, v90, -v7
	v_fmac_f32_e32 v81, v85, v90
	ds_read2_b64 v[88:91], v225 offset0:110 offset1:115
	ds_read2_b64 v[92:95], v225 offset0:140 offset1:145
	s_waitcnt lgkmcnt(1)
	v_mul_f32_e32 v7, v89, v75
	v_fma_f32 v84, v88, v74, -v7
	v_mul_f32_e32 v85, v88, v75
	s_waitcnt lgkmcnt(0)
	v_mul_f32_e32 v7, v93, v97
	v_fmac_f32_e32 v85, v89, v74
	v_fma_f32 v74, v92, v96, -v7
	v_mul_f32_e32 v7, v115, v101
	v_mul_f32_e32 v89, v114, v101
	v_fma_f32 v88, v114, v100, -v7
	v_fmac_f32_e32 v89, v115, v100
	ds_write2_b64 v225, v[88:89], v[106:107] offset0:40 offset1:45
	v_mul_f32_e32 v7, v83, v125
	v_mul_f32_e32 v89, v82, v125
	v_fma_f32 v88, v82, v124, -v7
	v_fmac_f32_e32 v89, v83, v124
	ds_write2_b64 v225, v[2:3], v[88:89] offset0:50 offset1:55
	;; [unrolled: 5-line block ×5, first 2 shown]
	v_mul_f32_e32 v2, v91, v1
	v_mul_f32_e32 v3, v90, v1
	v_fma_f32 v2, v90, v0, -v2
	v_fmac_f32_e32 v3, v91, v0
	v_mul_f32_e32 v0, v79, v221
	v_mul_f32_e32 v1, v78, v221
	v_fma_f32 v0, v78, v220, -v0
	v_fmac_f32_e32 v1, v79, v220
	v_mul_f32_e32 v75, v92, v97
	ds_write2_b64 v225, v[0:1], v[116:117] offset0:130 offset1:135
	v_mul_f32_e32 v0, v95, v111
	v_mul_f32_e32 v1, v94, v111
	v_fmac_f32_e32 v75, v93, v96
	v_fma_f32 v0, v94, v110, -v0
	v_fmac_f32_e32 v1, v95, v110
	ds_write2_b64 v225, v[84:85], v[2:3] offset0:110 offset1:115
	ds_write2_b64 v225, v[74:75], v[0:1] offset0:140 offset1:145
	s_waitcnt lgkmcnt(0)
	; wave barrier
	s_waitcnt lgkmcnt(0)
	ds_read2_b64 v[112:115], v225 offset1:5
	ds_read2_b64 v[72:75], v225 offset0:20 offset1:25
	ds_read2_b64 v[116:119], v225 offset0:30 offset1:35
	;; [unrolled: 1-line block ×9, first 2 shown]
	s_waitcnt lgkmcnt(4)
	v_mov_b32_e32 v0, v84
	s_waitcnt lgkmcnt(3)
	v_mov_b32_e32 v1, v80
	v_mov_b32_e32 v2, v76
	s_waitcnt lgkmcnt(1)
	v_mov_b32_e32 v3, v88
	v_pk_add_f32 v[0:1], v[0:1], v[2:3] neg_lo:[0,1] neg_hi:[0,1]
	v_mov_b32_e32 v92, v77
	v_mov_b32_e32 v2, v1
	v_pk_add_f32 v[0:1], v[0:1], v[2:3]
	v_mov_b32_e32 v2, v85
	v_mov_b32_e32 v3, v81
	;; [unrolled: 1-line block ×3, first 2 shown]
	v_pk_add_f32 v[2:3], v[2:3], v[92:93] neg_lo:[0,1] neg_hi:[0,1]
	s_waitcnt lgkmcnt(0)
	v_pk_add_f32 v[94:95], v[118:119], v[130:131] neg_lo:[0,1] neg_hi:[0,1]
	v_mov_b32_e32 v92, v3
	v_pk_add_f32 v[2:3], v[2:3], v[92:93]
	v_pk_add_f32 v[92:93], v[122:123], v[126:127]
	v_pk_mul_f32 v[96:97], v[94:95], s[2:3] op_sel_hi:[1,0]
	v_pk_fma_f32 v[92:93], v[92:93], 0.5, v[114:115] op_sel_hi:[1,0,1] neg_lo:[1,0,0] neg_hi:[1,0,0]
	v_pk_add_f32 v[98:99], v[122:123], v[126:127] neg_lo:[0,1] neg_hi:[0,1]
	v_pk_add_f32 v[102:103], v[118:119], v[122:123] neg_lo:[0,1] neg_hi:[0,1]
	;; [unrolled: 1-line block ×3, first 2 shown]
	v_pk_mul_f32 v[100:101], v[98:99], s[12:13] op_sel_hi:[1,0]
	v_pk_add_f32 v[102:103], v[102:103], v[104:105]
	v_pk_add_f32 v[104:105], v[92:93], v[96:97] op_sel:[0,1] op_sel_hi:[1,0] neg_lo:[0,1] neg_hi:[0,1]
	v_pk_add_f32 v[92:93], v[92:93], v[96:97] op_sel:[0,1] op_sel_hi:[1,0]
	v_pk_add_f32 v[96:97], v[104:105], v[100:101] op_sel:[0,1] op_sel_hi:[1,0] neg_lo:[0,1] neg_hi:[0,1]
	v_pk_add_f32 v[92:93], v[92:93], v[100:101] op_sel:[0,1] op_sel_hi:[1,0]
	v_mov_b32_e32 v100, v96
	v_mov_b32_e32 v101, v93
	v_pk_fma_f32 v[132:133], v[102:103], s[14:15], v[100:101] op_sel_hi:[1,0,1]
	v_pk_add_f32 v[100:101], v[84:85], v[80:81]
	v_pk_add_f32 v[104:105], v[76:77], v[88:89] neg_lo:[0,1] neg_hi:[0,1]
	v_pk_add_f32 v[110:111], v[76:77], v[84:85] neg_lo:[0,1] neg_hi:[0,1]
	;; [unrolled: 1-line block ×3, first 2 shown]
	v_pk_fma_f32 v[100:101], v[100:101], 0.5, v[72:73] op_sel_hi:[1,0,1] neg_lo:[1,0,0] neg_hi:[1,0,0]
	v_pk_mul_f32 v[106:107], v[104:105], s[2:3] op_sel_hi:[1,0]
	v_pk_add_f32 v[110:111], v[110:111], v[220:221]
	v_pk_add_f32 v[220:221], v[84:85], v[80:81] neg_lo:[0,1] neg_hi:[0,1]
	v_pk_add_f32 v[108:109], v[100:101], v[106:107] op_sel:[0,1] op_sel_hi:[1,0]
	v_pk_add_f32 v[100:101], v[100:101], v[106:107] op_sel:[0,1] op_sel_hi:[1,0] neg_lo:[0,1] neg_hi:[0,1]
	v_pk_mul_f32 v[106:107], v[220:221], s[12:13] op_sel_hi:[1,0]
	v_mov_b32_e32 v1, v105
	v_pk_add_f32 v[108:109], v[106:107], v[108:109] op_sel:[1,0] op_sel_hi:[0,1]
	v_pk_add_f32 v[100:101], v[100:101], v[106:107] op_sel:[0,1] op_sel_hi:[1,0] neg_lo:[0,1] neg_hi:[0,1]
	v_pk_fma_f32 v[106:107], v[110:111], s[14:15], v[108:109] op_sel_hi:[1,0,1]
	s_mov_b32 s15, s12
	v_mov_b32_e32 v108, v100
	v_pk_fma_f32 v[108:109], v[110:111], s[14:15], v[108:109] op_sel_hi:[1,0,1]
	v_pk_fma_f32 v[100:101], v[110:111], s[14:15], v[100:101] op_sel_hi:[1,0,1]
	v_pk_add_f32 v[110:111], v[76:77], v[88:89]
	v_mov_b32_e32 v3, v104
	v_fma_f32 v7, -0.5, v110, v72
	v_fma_f32 v27, -0.5, v111, v73
	v_pk_mul_f32 v[104:105], v[108:109], s[12:13] op_sel_hi:[1,0]
	v_fmamk_f32 v31, v221, 0x3f737871, v7
	v_fmac_f32_e32 v7, 0xbf737871, v221
	v_fmamk_f32 v35, v220, 0xbf737871, v27
	v_fmac_f32_e32 v27, 0x3f737871, v220
	v_pk_fma_f32 v[220:221], v[108:109], s[16:17], v[104:105] op_sel:[0,0,1] op_sel_hi:[1,0,0] neg_lo:[0,0,1] neg_hi:[0,0,1]
	v_pk_fma_f32 v[104:105], v[108:109], s[16:17], v[104:105] op_sel:[0,0,1] op_sel_hi:[1,0,0]
	v_pk_add_f32 v[108:109], v[126:127], v[130:131] neg_lo:[0,1] neg_hi:[0,1]
	v_mov_b32_e32 v221, v105
	v_pk_add_f32 v[104:105], v[122:123], v[118:119] neg_lo:[0,1] neg_hi:[0,1]
	v_pk_mul_f32 v[2:3], v[2:3], s[14:15]
	v_pk_add_f32 v[104:105], v[104:105], v[108:109]
	v_pk_add_f32 v[108:109], v[118:119], v[130:131]
	v_pk_mul_f32 v[0:1], v[0:1], s[14:15]
	v_add_f32_e32 v35, v3, v35
	v_pk_fma_f32 v[108:109], v[108:109], 0.5, v[114:115] op_sel_hi:[1,0,1] neg_lo:[1,0,0] neg_hi:[1,0,0]
	v_pk_mul_f32 v[98:99], v[98:99], s[2:3] op_sel_hi:[1,0]
	v_sub_f32_e32 v31, v31, v1
	s_mov_b32 s3, s14
	v_add_f32_e32 v96, v2, v35
	v_add_f32_e32 v1, v1, v7
	v_pk_add_f32 v[110:111], v[108:109], v[98:99] op_sel:[0,1] op_sel_hi:[1,0]
	v_pk_add_f32 v[98:99], v[108:109], v[98:99] op_sel:[0,1] op_sel_hi:[1,0] neg_lo:[0,1] neg_hi:[0,1]
	v_pk_mul_f32 v[108:109], v[96:97], s[2:3] op_sel_hi:[0,1]
	v_add_f32_e32 v96, v0, v31
	v_add_f32_e32 v0, v0, v1
	v_sub_f32_e32 v1, v27, v3
	v_pk_mul_f32 v[94:95], v[94:95], s[12:13] op_sel_hi:[1,0]
	v_add_f32_e32 v2, v2, v1
	v_pk_add_f32 v[98:99], v[98:99], v[94:95] op_sel:[0,1] op_sel_hi:[1,0]
	v_pk_add_f32 v[94:95], v[110:111], v[94:95] op_sel:[0,1] op_sel_hi:[1,0] neg_lo:[0,1] neg_hi:[0,1]
	v_pk_mul_f32 v[2:3], v[2:3], s[2:3] op_sel_hi:[0,1]
	v_pk_fma_f32 v[228:229], v[96:97], s[20:21], v[108:109] neg_lo:[0,0,1] neg_hi:[0,0,1]
	v_pk_fma_f32 v[108:109], v[96:97], s[20:21], v[108:109] op_sel_hi:[0,1,1]
	v_pk_fma_f32 v[0:1], v[0:1], s[18:19], v[2:3] op_sel_hi:[0,1,1] neg_lo:[0,0,1] neg_hi:[0,0,1]
	v_mov_b32_e32 v3, v99
	v_mov_b32_e32 v99, v95
	v_pk_add_f32 v[72:73], v[72:73], v[76:77]
	v_mov_b32_e32 v229, v109
	v_pk_add_f32 v[108:109], v[114:115], v[118:119]
	v_pk_add_f32 v[72:73], v[72:73], v[84:85]
	v_pk_fma_f32 v[76:77], v[104:105], s[14:15], v[98:99] op_sel_hi:[1,0,1]
	v_mov_b32_e32 v93, v97
	v_pk_mul_f32 v[84:85], v[100:101], s[12:13] op_sel:[1,0]
	v_pk_add_f32 v[108:109], v[108:109], v[122:123]
	v_mov_b32_e32 v2, v94
	v_pk_add_f32 v[72:73], v[72:73], v[80:81]
	v_pk_fma_f32 v[80:81], v[102:103], s[14:15], v[92:93] op_sel_hi:[1,0,1]
	v_pk_fma_f32 v[84:85], v[106:107], s[8:9], v[84:85] op_sel_hi:[0,1,1] neg_lo:[0,0,1] neg_hi:[0,0,1]
	v_pk_add_f32 v[106:107], v[76:77], v[0:1]
	v_pk_add_f32 v[92:93], v[76:77], v[0:1] neg_lo:[0,1] neg_hi:[0,1]
	v_pk_add_f32 v[0:1], v[112:113], v[116:117]
	v_pk_add_f32 v[108:109], v[108:109], v[126:127]
	v_pk_fma_f32 v[2:3], v[104:105], s[14:15], v[2:3] op_sel_hi:[1,0,1]
	v_pk_add_f32 v[0:1], v[0:1], v[120:121]
	v_pk_add_f32 v[114:115], v[108:109], v[130:131]
	;; [unrolled: 1-line block ×5, first 2 shown]
	v_pk_add_f32 v[98:99], v[2:3], v[228:229] neg_lo:[0,1] neg_hi:[0,1]
	v_pk_add_f32 v[94:95], v[80:81], v[84:85] neg_lo:[0,1] neg_hi:[0,1]
	v_pk_add_f32 v[0:1], v[0:1], v[124:125]
	v_pk_add_f32 v[80:81], v[120:121], v[124:125]
	v_pk_add_f32 v[2:3], v[116:117], v[128:129] neg_lo:[0,1] neg_hi:[0,1]
	v_pk_add_f32 v[108:109], v[114:115], v[72:73]
	v_pk_add_f32 v[102:103], v[114:115], v[72:73] neg_lo:[0,1] neg_hi:[0,1]
	;; [unrolled: 2-line block ×3, first 2 shown]
	v_pk_add_f32 v[84:85], v[116:117], v[120:121] neg_lo:[0,1] neg_hi:[0,1]
	v_pk_add_f32 v[0:1], v[120:121], v[116:117] neg_lo:[0,1] neg_hi:[0,1]
	;; [unrolled: 1-line block ×3, first 2 shown]
	v_pk_fma_f32 v[80:81], v[80:81], 0.5, v[112:113] op_sel_hi:[1,0,1] neg_lo:[1,0,0] neg_hi:[1,0,0]
	v_pk_mul_f32 v[120:121], v[2:3], s[2:3] op_sel_hi:[1,0]
	v_pk_add_f32 v[84:85], v[84:85], v[118:119]
	v_pk_add_f32 v[118:119], v[80:81], v[120:121] op_sel:[0,1] op_sel_hi:[1,0] neg_lo:[0,1] neg_hi:[0,1]
	v_pk_add_f32 v[80:81], v[80:81], v[120:121] op_sel:[0,1] op_sel_hi:[1,0]
	v_pk_mul_f32 v[120:121], v[76:77], s[12:13] op_sel_hi:[1,0]
	v_pk_add_f32 v[110:111], v[132:133], v[220:221]
	v_pk_add_f32 v[96:97], v[132:133], v[220:221] neg_lo:[0,1] neg_hi:[0,1]
	v_pk_add_f32 v[88:89], v[116:117], v[128:129]
	v_pk_add_f32 v[220:221], v[124:125], v[128:129] neg_lo:[0,1] neg_hi:[0,1]
	ds_read2_b64 v[114:117], v225 offset0:40 offset1:45
	v_pk_add_f32 v[80:81], v[80:81], v[120:121] op_sel:[0,1] op_sel_hi:[1,0]
	v_pk_add_f32 v[228:229], v[118:119], v[120:121] op_sel:[0,1] op_sel_hi:[1,0] neg_lo:[0,1] neg_hi:[0,1]
	ds_read2_b64 v[126:129], v225 offset0:70 offset1:75
	ds_read2_b64 v[118:121], v225 offset0:100 offset1:105
	;; [unrolled: 1-line block ×3, first 2 shown]
	v_pk_fma_f32 v[88:89], v[88:89], 0.5, v[112:113] op_sel_hi:[1,0,1] neg_lo:[1,0,0] neg_hi:[1,0,0]
	v_pk_mul_f32 v[76:77], v[76:77], s[2:3] op_sel_hi:[1,0]
	v_pk_mul_f32 v[2:3], v[2:3], s[12:13] op_sel_hi:[1,0]
	s_waitcnt lgkmcnt(2)
	v_pk_add_f32 v[130:131], v[116:117], v[128:129] neg_lo:[0,1] neg_hi:[0,1]
	s_waitcnt lgkmcnt(0)
	v_pk_add_f32 v[132:133], v[124:125], v[120:121] neg_lo:[0,1] neg_hi:[0,1]
	v_pk_add_f32 v[234:235], v[128:129], v[120:121]
	v_pk_add_f32 v[238:239], v[130:131], v[132:133]
	ds_read2_b64 v[130:133], v225 offset0:10 offset1:15
	v_pk_add_f32 v[240:241], v[116:117], v[124:125] neg_lo:[0,1] neg_hi:[0,1]
	v_pk_add_f32 v[244:245], v[128:129], v[120:121] neg_lo:[0,1] neg_hi:[0,1]
	v_pk_mul_f32 v[236:237], v[240:241], s[2:3] op_sel_hi:[1,0]
	s_waitcnt lgkmcnt(0)
	v_pk_fma_f32 v[234:235], v[234:235], 0.5, v[132:133] op_sel_hi:[1,0,1] neg_lo:[1,0,0] neg_hi:[1,0,0]
	; wave barrier
	s_nop 0
	v_pk_add_f32 v[242:243], v[234:235], v[236:237] op_sel:[0,1] op_sel_hi:[1,0]
	v_pk_add_f32 v[234:235], v[234:235], v[236:237] op_sel:[0,1] op_sel_hi:[1,0] neg_lo:[0,1] neg_hi:[0,1]
	v_pk_mul_f32 v[236:237], v[244:245], s[12:13] op_sel_hi:[1,0]
	v_mov_b32_e32 v112, v128
	v_pk_add_f32 v[242:243], v[236:237], v[242:243] op_sel:[1,0] op_sel_hi:[0,1]
	v_pk_add_f32 v[246:247], v[234:235], v[236:237] op_sel:[0,1] op_sel_hi:[1,0] neg_lo:[0,1] neg_hi:[0,1]
	v_pk_fma_f32 v[248:249], v[238:239], s[14:15], v[242:243] op_sel_hi:[1,0,1]
	v_mov_b32_e32 v242, v246
	v_pk_fma_f32 v[234:235], v[238:239], s[14:15], v[242:243] op_sel_hi:[1,0,1]
	v_mov_b32_e32 v113, v120
	v_pk_mul_f32 v[236:237], v[234:235], s[12:13] op_sel_hi:[1,0]
	v_pk_add_f32 v[0:1], v[0:1], v[220:221]
	v_pk_fma_f32 v[242:243], v[234:235], s[16:17], v[236:237] op_sel:[0,0,1] op_sel_hi:[1,0,0] neg_lo:[0,0,1] neg_hi:[0,0,1]
	v_pk_fma_f32 v[234:235], v[234:235], s[16:17], v[236:237] op_sel:[0,0,1] op_sel_hi:[1,0,0]
	s_nop 0
	v_mov_b32_e32 v243, v235
	v_pk_add_f32 v[234:235], v[132:133], v[116:117]
	s_nop 0
	v_pk_add_f32 v[234:235], v[234:235], v[128:129]
	v_mov_b32_e32 v128, v117
	v_pk_add_f32 v[234:235], v[234:235], v[120:121]
	s_nop 0
	v_pk_add_f32 v[254:255], v[234:235], v[124:125]
	v_mov_b32_e32 v234, v228
	v_mov_b32_e32 v235, v81
	v_pk_fma_f32 v[230:231], v[84:85], s[14:15], v[234:235] op_sel_hi:[1,0,1]
	v_pk_add_f32 v[234:235], v[72:73], v[254:255]
	v_pk_add_f32 v[236:237], v[230:231], v[242:243]
	ds_write_b128 v205, v[234:237]
	v_mov_b32_e32 v234, v116
	v_mov_b32_e32 v235, v124
	v_pk_add_f32 v[112:113], v[112:113], v[234:235] neg_lo:[0,1] neg_hi:[0,1]
	v_pk_add_f32 v[116:117], v[116:117], v[124:125]
	v_mov_b32_e32 v120, v113
	v_pk_add_f32 v[112:113], v[112:113], v[120:121]
	v_mov_b32_e32 v120, v129
	v_mov_b32_e32 v129, v125
	v_pk_add_f32 v[120:121], v[120:121], v[128:129] neg_lo:[0,1] neg_hi:[0,1]
	v_mov_b32_e32 v113, v241
	v_mov_b32_e32 v128, v121
	v_pk_add_f32 v[120:121], v[120:121], v[128:129]
	v_fma_f32 v7, -0.5, v116, v132
	v_mov_b32_e32 v121, v240
	v_fma_f32 v27, -0.5, v117, v133
	v_fmamk_f32 v31, v245, 0x3f737871, v7
	v_fmac_f32_e32 v7, 0xbf737871, v245
	v_pk_add_f32 v[116:117], v[88:89], v[76:77] op_sel:[0,1] op_sel_hi:[1,0]
	v_pk_add_f32 v[76:77], v[88:89], v[76:77] op_sel:[0,1] op_sel_hi:[1,0] neg_lo:[0,1] neg_hi:[0,1]
	v_pk_mul_f32 v[88:89], v[112:113], s[14:15]
	v_fmamk_f32 v35, v244, 0xbf737871, v27
	v_fmac_f32_e32 v27, 0x3f737871, v244
	v_sub_f32_e32 v31, v31, v89
	v_pk_mul_f32 v[112:113], v[120:121], s[14:15]
	v_add_f32_e32 v7, v89, v7
	v_add_f32_e32 v35, v113, v35
	;; [unrolled: 1-line block ×4, first 2 shown]
	v_sub_f32_e32 v7, v27, v113
	v_pk_add_f32 v[76:77], v[76:77], v[2:3] op_sel:[0,1] op_sel_hi:[1,0]
	v_pk_add_f32 v[2:3], v[116:117], v[2:3] op_sel:[0,1] op_sel_hi:[1,0] neg_lo:[0,1] neg_hi:[0,1]
	v_add_f32_e32 v116, v112, v35
	v_add_f32_e32 v112, v112, v7
	v_pk_mul_f32 v[112:113], v[112:113], s[2:3] op_sel_hi:[0,1]
	v_pk_mul_f32 v[116:117], v[116:117], s[2:3] op_sel_hi:[0,1]
	v_pk_fma_f32 v[88:89], v[88:89], s[18:19], v[112:113] op_sel_hi:[0,1,1] neg_lo:[0,0,1] neg_hi:[0,0,1]
	v_mov_b32_e32 v112, v2
	v_mov_b32_e32 v113, v77
	;; [unrolled: 1-line block ×3, first 2 shown]
	v_pk_fma_f32 v[124:125], v[120:121], s[20:21], v[116:117] neg_lo:[0,0,1] neg_hi:[0,0,1]
	v_pk_fma_f32 v[116:117], v[120:121], s[20:21], v[116:117] op_sel_hi:[0,1,1]
	v_pk_fma_f32 v[2:3], v[0:1], s[14:15], v[112:113] op_sel_hi:[1,0,1]
	v_pk_fma_f32 v[0:1], v[0:1], s[14:15], v[76:77] op_sel_hi:[1,0,1]
	v_pk_fma_f32 v[76:77], v[238:239], s[14:15], v[246:247] op_sel_hi:[1,0,1]
	v_mov_b32_e32 v125, v117
	v_mov_b32_e32 v81, v229
	v_pk_mul_f32 v[76:77], v[76:77], s[12:13] op_sel:[1,0]
	v_pk_add_f32 v[234:235], v[2:3], v[124:125]
	v_pk_add_f32 v[236:237], v[0:1], v[88:89]
	v_pk_fma_f32 v[80:81], v[84:85], s[14:15], v[80:81] op_sel_hi:[1,0,1]
	v_pk_fma_f32 v[76:77], v[248:249], s[8:9], v[76:77] op_sel_hi:[0,1,1] neg_lo:[0,0,1] neg_hi:[0,0,1]
	ds_write_b128 v205, v[234:237] offset:16
	v_pk_add_f32 v[236:237], v[72:73], v[254:255] neg_lo:[0,1] neg_hi:[0,1]
	v_pk_add_f32 v[234:235], v[80:81], v[76:77]
	ds_write_b128 v205, v[234:237] offset:32
	v_pk_add_f32 v[234:235], v[230:231], v[242:243] neg_lo:[0,1] neg_hi:[0,1]
	v_pk_add_f32 v[236:237], v[2:3], v[124:125] neg_lo:[0,1] neg_hi:[0,1]
	ds_write_b128 v205, v[234:237] offset:48
	v_pk_add_f32 v[234:235], v[0:1], v[88:89] neg_lo:[0,1] neg_hi:[0,1]
	v_pk_add_f32 v[0:1], v[130:131], v[114:115]
	v_pk_add_f32 v[236:237], v[80:81], v[76:77] neg_lo:[0,1] neg_hi:[0,1]
	v_pk_add_f32 v[0:1], v[0:1], v[126:127]
	v_mov_b32_e32 v2, v86
	v_pk_add_f32 v[0:1], v[0:1], v[118:119]
	v_mov_b32_e32 v3, v82
	v_mov_b32_e32 v76, v78
	;; [unrolled: 1-line block ×3, first 2 shown]
	v_pk_add_f32 v[72:73], v[0:1], v[122:123]
	v_pk_add_f32 v[0:1], v[78:79], v[90:91]
	v_pk_add_f32 v[2:3], v[2:3], v[76:77] neg_lo:[0,1] neg_hi:[0,1]
	v_fma_f32 v7, -0.5, v0, v74
	v_mov_b32_e32 v0, v3
	v_pk_add_f32 v[2:3], v[2:3], v[0:1]
	v_fma_f32 v27, -0.5, v1, v75
	v_mov_b32_e32 v0, v87
	v_mov_b32_e32 v1, v83
	;; [unrolled: 1-line block ×4, first 2 shown]
	v_pk_add_f32 v[0:1], v[0:1], v[80:81] neg_lo:[0,1] neg_hi:[0,1]
	ds_write_b128 v205, v[234:237] offset:64
	v_mov_b32_e32 v80, v1
	ds_write_b128 v201, v[108:111]
	v_pk_add_f32 v[0:1], v[0:1], v[80:81]
	ds_write_b128 v201, v[104:107] offset:16
	ds_write_b128 v201, v[100:103] offset:32
	;; [unrolled: 1-line block ×4, first 2 shown]
	v_pk_add_f32 v[80:81], v[126:127], v[118:119]
	v_pk_add_f32 v[94:95], v[114:115], v[122:123] neg_lo:[0,1] neg_hi:[0,1]
	v_pk_fma_f32 v[80:81], v[80:81], 0.5, v[130:131] op_sel_hi:[1,0,1] neg_lo:[1,0,0] neg_hi:[1,0,0]
	v_pk_mul_f32 v[88:89], v[94:95], s[2:3] op_sel_hi:[1,0]
	v_pk_add_f32 v[96:97], v[126:127], v[118:119] neg_lo:[0,1] neg_hi:[0,1]
	v_pk_add_f32 v[84:85], v[114:115], v[126:127] neg_lo:[0,1] neg_hi:[0,1]
	;; [unrolled: 1-line block ×4, first 2 shown]
	v_pk_mul_f32 v[92:93], v[96:97], s[12:13] op_sel_hi:[1,0]
	v_pk_add_f32 v[84:85], v[84:85], v[98:99]
	v_pk_add_f32 v[98:99], v[80:81], v[88:89] op_sel:[0,1] op_sel_hi:[1,0] neg_lo:[0,1] neg_hi:[0,1]
	v_pk_add_f32 v[80:81], v[80:81], v[88:89] op_sel:[0,1] op_sel_hi:[1,0]
	v_pk_add_f32 v[106:107], v[86:87], v[82:83] neg_lo:[0,1] neg_hi:[0,1]
	v_mov_b32_e32 v3, v101
	v_pk_add_f32 v[88:89], v[80:81], v[92:93] op_sel:[0,1] op_sel_hi:[1,0]
	v_pk_add_f32 v[92:93], v[98:99], v[92:93] op_sel:[0,1] op_sel_hi:[1,0] neg_lo:[0,1] neg_hi:[0,1]
	v_pk_add_f32 v[98:99], v[86:87], v[82:83]
	v_fmamk_f32 v1, v107, 0x3f737871, v7
	v_pk_mul_f32 v[2:3], v[2:3], s[14:15]
	v_pk_fma_f32 v[98:99], v[98:99], 0.5, v[74:75] op_sel_hi:[1,0,1] neg_lo:[1,0,0] neg_hi:[1,0,0]
	v_pk_mul_f32 v[102:103], v[100:101], s[2:3] op_sel_hi:[1,0]
	v_sub_f32_e32 v1, v1, v3
	v_fmac_f32_e32 v7, 0xbf737871, v107
	v_pk_add_f32 v[76:77], v[74:75], v[78:79]
	v_mov_b32_e32 v80, v92
	v_pk_add_f32 v[74:75], v[98:99], v[102:103] op_sel:[0,1] op_sel_hi:[1,0]
	v_pk_mul_f32 v[108:109], v[106:107], s[12:13] op_sel_hi:[1,0]
	v_add_f32_e32 v92, v2, v1
	v_add_f32_e32 v1, v3, v7
	v_pk_add_f32 v[76:77], v[76:77], v[86:87]
	v_pk_add_f32 v[78:79], v[78:79], v[86:87] neg_lo:[0,1] neg_hi:[0,1]
	v_pk_add_f32 v[110:111], v[108:109], v[74:75] op_sel:[1,0] op_sel_hi:[0,1]
	v_pk_add_f32 v[74:75], v[90:91], v[82:83] neg_lo:[0,1] neg_hi:[0,1]
	v_add_f32_e32 v86, v2, v1
	v_pk_add_f32 v[2:3], v[98:99], v[102:103] op_sel:[0,1] op_sel_hi:[1,0] neg_lo:[0,1] neg_hi:[0,1]
	v_pk_add_f32 v[78:79], v[78:79], v[74:75]
	v_pk_add_f32 v[2:3], v[2:3], v[108:109] op_sel:[0,1] op_sel_hi:[1,0] neg_lo:[0,1] neg_hi:[0,1]
	v_mov_b32_e32 v1, v100
	v_pk_add_f32 v[76:77], v[76:77], v[82:83]
	v_pk_fma_f32 v[74:75], v[78:79], s[14:15], v[110:111] op_sel_hi:[1,0,1]
	v_mov_b32_e32 v110, v2
	v_pk_fma_f32 v[82:83], v[78:79], s[14:15], v[2:3] op_sel_hi:[1,0,1]
	v_fmamk_f32 v2, v106, 0xbf737871, v27
	v_pk_mul_f32 v[0:1], v[0:1], s[14:15]
	v_fmac_f32_e32 v27, 0x3f737871, v106
	v_pk_fma_f32 v[102:103], v[78:79], s[14:15], v[110:111] op_sel_hi:[1,0,1]
	v_add_f32_e32 v2, v1, v2
	v_sub_f32_e32 v1, v27, v1
	v_pk_add_f32 v[76:77], v[76:77], v[90:91]
	v_add_f32_e32 v98, v0, v2
	v_add_f32_e32 v90, v0, v1
	v_pk_mul_f32 v[0:1], v[102:103], s[12:13] op_sel_hi:[1,0]
	v_pk_add_f32 v[2:3], v[126:127], v[114:115] neg_lo:[0,1] neg_hi:[0,1]
	v_pk_fma_f32 v[78:79], v[102:103], s[16:17], v[0:1] op_sel:[0,0,1] op_sel_hi:[1,0,0] neg_lo:[0,0,1] neg_hi:[0,0,1]
	v_pk_fma_f32 v[0:1], v[102:103], s[16:17], v[0:1] op_sel:[0,0,1] op_sel_hi:[1,0,0]
	v_pk_add_f32 v[100:101], v[118:119], v[122:123] neg_lo:[0,1] neg_hi:[0,1]
	v_mov_b32_e32 v79, v1
	v_pk_add_f32 v[0:1], v[114:115], v[122:123]
	v_pk_mul_f32 v[96:97], v[96:97], s[2:3] op_sel_hi:[1,0]
	v_pk_fma_f32 v[0:1], v[0:1], 0.5, v[130:131] op_sel_hi:[1,0,1] neg_lo:[1,0,0] neg_hi:[1,0,0]
	v_pk_add_f32 v[2:3], v[2:3], v[100:101]
	v_pk_mul_f32 v[94:95], v[94:95], s[12:13] op_sel_hi:[1,0]
	v_pk_add_f32 v[100:101], v[0:1], v[96:97] op_sel:[0,1] op_sel_hi:[1,0]
	v_pk_add_f32 v[0:1], v[0:1], v[96:97] op_sel:[0,1] op_sel_hi:[1,0] neg_lo:[0,1] neg_hi:[0,1]
	v_pk_add_f32 v[96:97], v[100:101], v[94:95] op_sel:[0,1] op_sel_hi:[1,0] neg_lo:[0,1] neg_hi:[0,1]
	v_pk_add_f32 v[0:1], v[0:1], v[94:95] op_sel:[0,1] op_sel_hi:[1,0]
	v_mov_b32_e32 v94, v96
	v_mov_b32_e32 v95, v1
	;; [unrolled: 1-line block ×3, first 2 shown]
	v_pk_fma_f32 v[100:101], v[2:3], s[14:15], v[94:95] op_sel_hi:[1,0,1]
	v_pk_mul_f32 v[94:95], v[98:99], s[2:3] op_sel_hi:[0,1]
	v_mov_b32_e32 v1, v97
	v_mov_b32_e32 v89, v93
	v_pk_mul_f32 v[82:83], v[82:83], s[12:13] op_sel:[1,0]
	v_pk_fma_f32 v[98:99], v[92:93], s[20:21], v[94:95] neg_lo:[0,0,1] neg_hi:[0,0,1]
	v_pk_fma_f32 v[94:95], v[92:93], s[20:21], v[94:95] op_sel_hi:[0,1,1]
	v_pk_fma_f32 v[0:1], v[2:3], s[14:15], v[0:1] op_sel_hi:[1,0,1]
	;; [unrolled: 1-line block ×3, first 2 shown]
	v_pk_fma_f32 v[82:83], v[74:75], s[8:9], v[82:83] op_sel_hi:[0,1,1] neg_lo:[0,0,1] neg_hi:[0,0,1]
	v_pk_add_f32 v[104:105], v[72:73], v[76:77]
	v_pk_fma_f32 v[80:81], v[84:85], s[14:15], v[80:81] op_sel_hi:[1,0,1]
	v_mov_b32_e32 v99, v95
	v_pk_mul_f32 v[90:91], v[90:91], s[2:3] op_sel_hi:[0,1]
	v_pk_add_f32 v[74:75], v[2:3], v[82:83]
	v_pk_add_f32 v[76:77], v[72:73], v[76:77] neg_lo:[0,1] neg_hi:[0,1]
	v_pk_fma_f32 v[86:87], v[86:87], s[18:19], v[90:91] op_sel_hi:[0,1,1] neg_lo:[0,0,1] neg_hi:[0,0,1]
	ds_write_b128 v199, v[74:77] offset:32
	v_pk_add_f32 v[72:73], v[80:81], v[78:79] neg_lo:[0,1] neg_hi:[0,1]
	v_pk_add_f32 v[74:75], v[100:101], v[98:99] neg_lo:[0,1] neg_hi:[0,1]
	v_pk_add_f32 v[106:107], v[80:81], v[78:79]
	v_pk_add_f32 v[94:95], v[100:101], v[98:99]
	v_pk_add_f32 v[96:97], v[0:1], v[86:87]
	ds_write_b128 v199, v[72:75] offset:48
	v_pk_add_f32 v[72:73], v[0:1], v[86:87] neg_lo:[0,1] neg_hi:[0,1]
	v_pk_add_f32 v[74:75], v[2:3], v[82:83] neg_lo:[0,1] neg_hi:[0,1]
	ds_write_b128 v199, v[104:107]
	ds_write_b128 v199, v[94:97] offset:16
	ds_write_b128 v199, v[72:75] offset:64
	s_waitcnt lgkmcnt(0)
	; wave barrier
	s_waitcnt lgkmcnt(0)
	ds_read2_b64 v[76:79], v225 offset0:30 offset1:35
	ds_read2_b64 v[80:83], v225 offset0:60 offset1:65
	;; [unrolled: 1-line block ×4, first 2 shown]
	v_mov_b32_e32 v94, s0
	v_mov_b32_e32 v95, s1
	s_waitcnt lgkmcnt(3)
	v_pk_mul_f32 v[0:1], v[4:5], v[76:77] op_sel:[1,0]
	s_nop 0
	v_pk_fma_f32 v[2:3], v[4:5], v[76:77], v[0:1] op_sel:[0,0,1] op_sel_hi:[1,1,0]
	v_pk_fma_f32 v[0:1], v[4:5], v[76:77], v[0:1] op_sel:[0,0,1] op_sel_hi:[0,1,0] neg_lo:[0,0,1] neg_hi:[0,0,1]
	v_mov_b32_e32 v3, v1
	s_waitcnt lgkmcnt(2)
	v_pk_mul_f32 v[0:1], v[200:201], v[80:81] op_sel_hi:[0,1]
	v_pk_fma_f32 v[72:73], v[6:7], v[80:81], v[0:1] op_sel:[0,0,1] op_sel_hi:[1,1,0]
	v_pk_fma_f32 v[0:1], v[6:7], v[80:81], v[0:1] op_sel:[0,0,1] op_sel_hi:[0,1,0] neg_lo:[0,0,1] neg_hi:[0,0,1]
	ds_read2_b64 v[74:77], v225 offset1:5
	v_mov_b32_e32 v73, v1
	s_waitcnt lgkmcnt(2)
	v_pk_mul_f32 v[0:1], v[8:9], v[84:85] op_sel:[1,0]
	s_nop 0
	v_pk_fma_f32 v[80:81], v[8:9], v[84:85], v[0:1] op_sel:[0,0,1] op_sel_hi:[1,1,0]
	v_pk_fma_f32 v[0:1], v[8:9], v[84:85], v[0:1] op_sel:[0,0,1] op_sel_hi:[0,1,0] neg_lo:[0,0,1] neg_hi:[0,0,1]
	v_mov_b32_e32 v81, v1
	s_waitcnt lgkmcnt(1)
	v_pk_mul_f32 v[0:1], v[198:199], v[88:89] op_sel_hi:[0,1]
	v_pk_fma_f32 v[84:85], v[10:11], v[88:89], v[0:1] op_sel:[0,0,1] op_sel_hi:[1,1,0]
	v_pk_fma_f32 v[0:1], v[10:11], v[88:89], v[0:1] op_sel:[0,0,1] op_sel_hi:[0,1,0] neg_lo:[0,0,1] neg_hi:[0,0,1]
	v_mov_b32_e32 v85, v1
	s_waitcnt lgkmcnt(0)
	v_pk_add_f32 v[0:1], v[74:75], v[2:3]
	v_pk_add_f32 v[92:93], v[84:85], v[80:81] neg_lo:[0,1] neg_hi:[0,1]
	v_pk_add_f32 v[0:1], v[0:1], v[72:73]
	s_nop 0
	v_pk_add_f32 v[0:1], v[0:1], v[80:81]
	s_nop 0
	v_pk_add_f32 v[116:117], v[0:1], v[84:85]
	v_pk_mul_f32 v[0:1], v[52:53], v[78:79] op_sel:[1,0]
	s_nop 0
	v_pk_fma_f32 v[100:101], v[52:53], v[78:79], v[0:1] op_sel:[0,0,1] op_sel_hi:[1,1,0]
	v_pk_fma_f32 v[0:1], v[52:53], v[78:79], v[0:1] op_sel:[0,0,1] op_sel_hi:[0,1,0] neg_lo:[0,0,1] neg_hi:[0,0,1]
	v_mov_b32_e32 v101, v1
	v_pk_mul_f32 v[0:1], v[204:205], v[82:83] op_sel_hi:[0,1]
	v_pk_fma_f32 v[102:103], v[54:55], v[82:83], v[0:1] op_sel:[0,0,1] op_sel_hi:[1,1,0]
	v_pk_fma_f32 v[0:1], v[54:55], v[82:83], v[0:1] op_sel:[0,0,1] op_sel_hi:[0,1,0] neg_lo:[0,0,1] neg_hi:[0,0,1]
	v_mov_b32_e32 v103, v1
	v_pk_mul_f32 v[0:1], v[48:49], v[86:87] op_sel:[1,0]
	v_pk_add_f32 v[78:79], v[2:3], v[84:85] neg_lo:[0,1] neg_hi:[0,1]
	v_pk_fma_f32 v[106:107], v[48:49], v[86:87], v[0:1] op_sel:[0,0,1] op_sel_hi:[1,1,0]
	v_pk_fma_f32 v[0:1], v[48:49], v[86:87], v[0:1] op_sel:[0,0,1] op_sel_hi:[0,1,0] neg_lo:[0,0,1] neg_hi:[0,0,1]
	v_mov_b32_e32 v107, v1
	v_pk_mul_f32 v[0:1], v[206:207], v[90:91] op_sel_hi:[0,1]
	v_pk_fma_f32 v[108:109], v[50:51], v[90:91], v[0:1] op_sel:[0,0,1] op_sel_hi:[1,1,0]
	v_pk_fma_f32 v[0:1], v[50:51], v[90:91], v[0:1] op_sel:[0,0,1] op_sel_hi:[0,1,0] neg_lo:[0,0,1] neg_hi:[0,0,1]
	v_mov_b32_e32 v109, v1
	v_pk_add_f32 v[0:1], v[76:77], v[100:101]
	v_pk_mul_f32 v[82:83], v[78:79], s[2:3] op_sel_hi:[1,0]
	v_pk_add_f32 v[0:1], v[0:1], v[102:103]
	v_pk_add_f32 v[86:87], v[72:73], v[80:81] neg_lo:[0,1] neg_hi:[0,1]
	v_pk_add_f32 v[0:1], v[0:1], v[106:107]
	v_pk_add_f32 v[90:91], v[2:3], v[72:73] neg_lo:[0,1] neg_hi:[0,1]
	v_pk_add_f32 v[122:123], v[0:1], v[108:109]
	v_pk_add_f32 v[0:1], v[72:73], v[80:81]
	v_pk_mul_f32 v[88:89], v[86:87], s[12:13] op_sel_hi:[1,0]
	v_pk_fma_f32 v[0:1], v[0:1], 0.5, v[74:75] op_sel_hi:[1,0,1] neg_lo:[1,0,0] neg_hi:[1,0,0]
	v_pk_add_f32 v[90:91], v[90:91], v[92:93]
	v_pk_add_f32 v[92:93], v[0:1], v[82:83] op_sel:[0,1] op_sel_hi:[1,0] neg_lo:[0,1] neg_hi:[0,1]
	v_pk_add_f32 v[0:1], v[0:1], v[82:83] op_sel:[0,1] op_sel_hi:[1,0]
	v_pk_add_f32 v[82:83], v[92:93], v[88:89] op_sel:[0,1] op_sel_hi:[1,0] neg_lo:[0,1] neg_hi:[0,1]
	v_pk_add_f32 v[0:1], v[0:1], v[88:89] op_sel:[0,1] op_sel_hi:[1,0]
	v_mov_b32_e32 v88, v82
	v_mov_b32_e32 v89, v1
	v_pk_fma_f32 v[114:115], v[90:91], s[14:15], v[88:89] op_sel_hi:[1,0,1]
	v_pk_add_f32 v[88:89], v[2:3], v[84:85]
	v_pk_add_f32 v[2:3], v[72:73], v[2:3] neg_lo:[0,1] neg_hi:[0,1]
	v_pk_add_f32 v[72:73], v[80:81], v[84:85] neg_lo:[0,1] neg_hi:[0,1]
	v_pk_fma_f32 v[74:75], v[88:89], 0.5, v[74:75] op_sel_hi:[1,0,1] neg_lo:[1,0,0] neg_hi:[1,0,0]
	v_pk_add_f32 v[2:3], v[2:3], v[72:73]
	v_pk_mul_f32 v[72:73], v[86:87], s[2:3] op_sel_hi:[1,0]
	v_pk_mul_f32 v[78:79], v[78:79], s[12:13] op_sel_hi:[1,0]
	v_pk_add_f32 v[80:81], v[74:75], v[72:73] op_sel:[0,1] op_sel_hi:[1,0]
	v_pk_add_f32 v[72:73], v[74:75], v[72:73] op_sel:[0,1] op_sel_hi:[1,0] neg_lo:[0,1] neg_hi:[0,1]
	v_pk_add_f32 v[74:75], v[80:81], v[78:79] op_sel:[0,1] op_sel_hi:[1,0] neg_lo:[0,1] neg_hi:[0,1]
	v_pk_add_f32 v[72:73], v[72:73], v[78:79] op_sel:[0,1] op_sel_hi:[1,0]
	v_mov_b32_e32 v78, v74
	v_mov_b32_e32 v79, v73
	;; [unrolled: 1-line block ×4, first 2 shown]
	v_pk_fma_f32 v[112:113], v[2:3], s[14:15], v[78:79] op_sel_hi:[1,0,1]
	v_pk_fma_f32 v[110:111], v[2:3], s[14:15], v[72:73] op_sel_hi:[1,0,1]
	;; [unrolled: 1-line block ×3, first 2 shown]
	ds_read2_b64 v[90:93], v225 offset0:40 offset1:45
	ds_read2_b64 v[72:75], v225 offset0:10 offset1:15
	;; [unrolled: 1-line block ×5, first 2 shown]
	s_waitcnt lgkmcnt(4)
	v_pk_mul_f32 v[0:1], v[52:53], v[92:93] op_sel:[1,0]
	ds_read2_b64 v[118:121], v225 offset0:50 offset1:55
	v_pk_fma_f32 v[96:97], v[52:53], v[92:93], v[0:1] op_sel:[0,0,1] op_sel_hi:[1,1,0]
	v_pk_fma_f32 v[0:1], v[52:53], v[92:93], v[0:1] op_sel:[0,0,1] op_sel_hi:[0,1,0] neg_lo:[0,0,1] neg_hi:[0,0,1]
	v_mov_b32_e32 v97, v1
	s_waitcnt lgkmcnt(3)
	v_pk_mul_f32 v[0:1], v[204:205], v[88:89] op_sel_hi:[0,1]
	v_pk_fma_f32 v[52:53], v[54:55], v[88:89], v[0:1] op_sel:[0,0,1] op_sel_hi:[1,1,0]
	v_pk_fma_f32 v[0:1], v[54:55], v[88:89], v[0:1] op_sel:[0,0,1] op_sel_hi:[0,1,0] neg_lo:[0,0,1] neg_hi:[0,0,1]
	v_mov_b32_e32 v53, v1
	s_waitcnt lgkmcnt(2)
	v_pk_mul_f32 v[0:1], v[48:49], v[84:85] op_sel:[1,0]
	ds_read2_b64 v[124:127], v225 offset0:80 offset1:85
	v_pk_fma_f32 v[54:55], v[48:49], v[84:85], v[0:1] op_sel:[0,0,1] op_sel_hi:[1,1,0]
	v_pk_fma_f32 v[0:1], v[48:49], v[84:85], v[0:1] op_sel:[0,0,1] op_sel_hi:[0,1,0] neg_lo:[0,0,1] neg_hi:[0,0,1]
	v_mov_b32_e32 v55, v1
	s_waitcnt lgkmcnt(2)
	v_pk_mul_f32 v[0:1], v[206:207], v[80:81] op_sel_hi:[0,1]
	v_pk_fma_f32 v[84:85], v[50:51], v[80:81], v[0:1] op_sel:[0,0,1] op_sel_hi:[1,1,0]
	v_pk_fma_f32 v[0:1], v[50:51], v[80:81], v[0:1] op_sel:[0,0,1] op_sel_hi:[0,1,0] neg_lo:[0,0,1] neg_hi:[0,0,1]
	v_mov_b32_e32 v85, v1
	v_pk_add_f32 v[0:1], v[96:97], v[84:85]
	v_pk_add_f32 v[48:49], v[52:53], v[54:55] neg_lo:[0,1] neg_hi:[0,1]
	v_pk_fma_f32 v[0:1], v[0:1], 0.5, v[74:75] op_sel_hi:[1,0,1] neg_lo:[1,0,0] neg_hi:[1,0,0]
	v_pk_add_f32 v[2:3], v[52:53], v[96:97] neg_lo:[0,1] neg_hi:[0,1]
	v_pk_add_f32 v[80:81], v[54:55], v[84:85] neg_lo:[0,1] neg_hi:[0,1]
	;; [unrolled: 1-line block ×3, first 2 shown]
	v_pk_add_f32 v[80:81], v[2:3], v[80:81]
	v_pk_fma_f32 v[2:3], v[48:49], s[2:3], v[0:1] op_sel:[1,0,0] op_sel_hi:[0,0,1] neg_lo:[1,0,0] neg_hi:[1,0,0]
	v_pk_fma_f32 v[0:1], v[48:49], s[2:3], v[0:1] op_sel:[1,0,0] op_sel_hi:[0,0,1]
	v_pk_fma_f32 v[88:89], v[50:51], s[12:13], v[0:1] op_sel:[1,0,0] op_sel_hi:[0,0,1] neg_lo:[1,0,0] neg_hi:[1,0,0]
	v_pk_fma_f32 v[92:93], v[50:51], s[12:13], v[2:3] op_sel:[1,0,0] op_sel_hi:[0,0,1]
	v_mov_b32_e32 v0, v92
	v_mov_b32_e32 v1, v89
	v_pk_fma_f32 v[130:131], v[80:81], s[14:15], v[0:1] op_sel_hi:[1,0,1]
	s_waitcnt lgkmcnt(1)
	v_pk_mul_f32 v[0:1], v[20:21], v[120:121] op_sel:[1,0]
	s_waitcnt lgkmcnt(0)
	v_pk_mul_f32 v[2:3], v[208:209], v[126:127] op_sel_hi:[0,1]
	v_pk_fma_f32 v[98:99], v[20:21], v[120:121], v[0:1] op_sel:[0,0,1] op_sel_hi:[1,1,0]
	v_pk_fma_f32 v[0:1], v[20:21], v[120:121], v[0:1] op_sel:[0,0,1] op_sel_hi:[0,1,0] neg_lo:[0,0,1] neg_hi:[0,0,1]
	v_pk_fma_f32 v[20:21], v[22:23], v[126:127], v[2:3] op_sel:[0,0,1] op_sel_hi:[1,1,0]
	v_pk_fma_f32 v[2:3], v[22:23], v[126:127], v[2:3] op_sel:[0,0,1] op_sel_hi:[0,1,0] neg_lo:[0,0,1] neg_hi:[0,0,1]
	v_pk_mul_f32 v[22:23], v[12:13], v[118:119] op_sel:[1,0]
	v_mov_b32_e32 v99, v1
	v_pk_fma_f32 v[126:127], v[12:13], v[118:119], v[22:23] op_sel:[0,0,1] op_sel_hi:[1,1,0]
	v_pk_fma_f32 v[208:209], v[12:13], v[118:119], v[22:23] op_sel:[0,0,1] op_sel_hi:[0,1,0] neg_lo:[0,0,1] neg_hi:[0,0,1]
	ds_read2_b64 v[118:121], v225 offset0:110 offset1:115
	v_pk_mul_f32 v[12:13], v[216:217], v[124:125] op_sel_hi:[0,1]
	v_pk_fma_f32 v[128:129], v[14:15], v[124:125], v[12:13] op_sel:[0,0,1] op_sel_hi:[1,1,0]
	v_pk_fma_f32 v[220:221], v[14:15], v[124:125], v[12:13] op_sel:[0,0,1] op_sel_hi:[0,1,0] neg_lo:[0,0,1] neg_hi:[0,0,1]
	ds_read2_b64 v[12:15], v225 offset0:20 offset1:25
	ds_read2_b64 v[204:207], v225 offset0:140 offset1:145
	s_waitcnt lgkmcnt(2)
	v_pk_mul_f32 v[0:1], v[16:17], v[120:121] op_sel:[1,0]
	v_mov_b32_e32 v21, v3
	v_pk_fma_f32 v[22:23], v[16:17], v[120:121], v[0:1] op_sel:[0,0,1] op_sel_hi:[1,1,0]
	v_pk_fma_f32 v[0:1], v[16:17], v[120:121], v[0:1] op_sel:[0,0,1] op_sel_hi:[0,1,0] neg_lo:[0,0,1] neg_hi:[0,0,1]
	v_mov_b32_e32 v23, v1
	s_waitcnt lgkmcnt(0)
	v_pk_mul_f32 v[0:1], v[202:203], v[206:207] op_sel_hi:[0,1]
	v_pk_fma_f32 v[16:17], v[18:19], v[206:207], v[0:1] op_sel:[0,0,1] op_sel_hi:[1,1,0]
	v_pk_fma_f32 v[0:1], v[18:19], v[206:207], v[0:1] op_sel:[0,0,1] op_sel_hi:[0,1,0] neg_lo:[0,0,1] neg_hi:[0,0,1]
	v_mov_b32_e32 v17, v1
	v_pk_add_f32 v[0:1], v[20:21], v[22:23]
	v_pk_mul_f32 v[2:3], v[134:135], v[118:119] op_sel:[1,0]
	v_pk_mul_f32 v[18:19], v[212:213], v[204:205] op_sel_hi:[0,1]
	v_pk_fma_f32 v[0:1], v[0:1], 0.5, v[14:15] op_sel_hi:[1,0,1] neg_lo:[1,0,0] neg_hi:[1,0,0]
	v_pk_fma_f32 v[132:133], v[134:135], v[118:119], v[2:3] op_sel:[0,0,1] op_sel_hi:[1,1,0]
	v_pk_fma_f32 v[2:3], v[134:135], v[118:119], v[2:3] op_sel:[0,0,1] op_sel_hi:[0,1,0] neg_lo:[0,0,1] neg_hi:[0,0,1]
	v_pk_add_f32 v[134:135], v[98:99], v[16:17] neg_lo:[0,1] neg_hi:[0,1]
	v_pk_fma_f32 v[202:203], v[136:137], v[204:205], v[18:19] op_sel:[0,0,1] op_sel_hi:[1,1,0]
	v_pk_fma_f32 v[204:205], v[136:137], v[204:205], v[18:19] op_sel:[0,0,1] op_sel_hi:[0,1,0] neg_lo:[0,0,1] neg_hi:[0,0,1]
	v_pk_add_f32 v[18:19], v[98:99], v[20:21] neg_lo:[0,1] neg_hi:[0,1]
	v_pk_add_f32 v[118:119], v[16:17], v[22:23] neg_lo:[0,1] neg_hi:[0,1]
	;; [unrolled: 1-line block ×3, first 2 shown]
	v_pk_add_f32 v[118:119], v[18:19], v[118:119]
	v_pk_fma_f32 v[18:19], v[134:135], s[2:3], v[0:1] op_sel:[1,0,0] op_sel_hi:[0,0,1]
	v_pk_fma_f32 v[0:1], v[134:135], s[2:3], v[0:1] op_sel:[1,0,0] op_sel_hi:[0,0,1] neg_lo:[1,0,0] neg_hi:[1,0,0]
	v_pk_fma_f32 v[120:121], v[136:137], s[12:13], v[0:1] op_sel:[1,0,0] op_sel_hi:[0,0,1] neg_lo:[1,0,0] neg_hi:[1,0,0]
	v_pk_fma_f32 v[124:125], v[136:137], s[12:13], v[18:19] op_sel:[1,0,0] op_sel_hi:[0,0,1]
	v_mov_b32_e32 v0, v124
	v_mov_b32_e32 v1, v121
	;; [unrolled: 1-line block ×4, first 2 shown]
	v_pk_mul_f32 v[2:3], v[4:5], v[90:91] op_sel:[1,0]
	v_pk_fma_f32 v[18:19], v[118:119], s[14:15], v[0:1] op_sel_hi:[1,0,1]
	v_mov_b32_e32 v127, v209
	v_mov_b32_e32 v203, v205
	v_pk_add_f32 v[0:1], v[128:129], v[132:133]
	v_pk_fma_f32 v[206:207], v[4:5], v[90:91], v[2:3] op_sel:[0,0,1] op_sel_hi:[1,1,0]
	v_pk_fma_f32 v[2:3], v[4:5], v[90:91], v[2:3] op_sel:[0,0,1] op_sel_hi:[0,1,0] neg_lo:[0,0,1] neg_hi:[0,0,1]
	v_pk_mul_f32 v[4:5], v[200:201], v[86:87] op_sel_hi:[0,1]
	v_pk_fma_f32 v[0:1], v[0:1], 0.5, v[12:13] op_sel_hi:[1,0,1] neg_lo:[1,0,0] neg_hi:[1,0,0]
	v_pk_add_f32 v[204:205], v[126:127], v[202:203] neg_lo:[0,1] neg_hi:[0,1]
	v_pk_fma_f32 v[208:209], v[6:7], v[86:87], v[4:5] op_sel:[0,0,1] op_sel_hi:[1,1,0]
	v_pk_fma_f32 v[212:213], v[6:7], v[86:87], v[4:5] op_sel:[0,0,1] op_sel_hi:[0,1,0] neg_lo:[0,0,1] neg_hi:[0,0,1]
	v_pk_add_f32 v[4:5], v[126:127], v[128:129] neg_lo:[0,1] neg_hi:[0,1]
	v_pk_add_f32 v[6:7], v[202:203], v[132:133] neg_lo:[0,1] neg_hi:[0,1]
	;; [unrolled: 1-line block ×3, first 2 shown]
	v_pk_add_f32 v[6:7], v[4:5], v[6:7]
	v_pk_fma_f32 v[4:5], v[204:205], s[2:3], v[0:1] op_sel:[1,0,0] op_sel_hi:[0,0,1]
	v_pk_fma_f32 v[0:1], v[204:205], s[2:3], v[0:1] op_sel:[1,0,0] op_sel_hi:[0,0,1] neg_lo:[1,0,0] neg_hi:[1,0,0]
	v_pk_fma_f32 v[86:87], v[90:91], s[12:13], v[0:1] op_sel:[1,0,0] op_sel_hi:[0,0,1] neg_lo:[1,0,0] neg_hi:[1,0,0]
	v_pk_fma_f32 v[200:201], v[90:91], s[12:13], v[4:5] op_sel:[1,0,0] op_sel_hi:[0,0,1]
	v_mov_b32_e32 v0, v200
	v_mov_b32_e32 v1, v87
	v_pk_fma_f32 v[4:5], v[6:7], s[14:15], v[0:1] op_sel_hi:[1,0,1]
	v_pk_mul_f32 v[0:1], v[8:9], v[82:83] op_sel:[1,0]
	v_mov_b32_e32 v209, v213
	v_pk_fma_f32 v[212:213], v[8:9], v[82:83], v[0:1] op_sel:[0,0,1] op_sel_hi:[1,1,0]
	v_pk_fma_f32 v[0:1], v[8:9], v[82:83], v[0:1] op_sel:[0,0,1] op_sel_hi:[0,1,0] neg_lo:[0,0,1] neg_hi:[0,0,1]
	v_mov_b32_e32 v213, v1
	v_pk_mul_f32 v[0:1], v[198:199], v[78:79] op_sel_hi:[0,1]
	v_pk_fma_f32 v[82:83], v[10:11], v[78:79], v[0:1] op_sel:[0,0,1] op_sel_hi:[1,1,0]
	v_pk_fma_f32 v[0:1], v[10:11], v[78:79], v[0:1] op_sel:[0,0,1] op_sel_hi:[0,1,0] neg_lo:[0,0,1] neg_hi:[0,0,1]
	v_mov_b32_e32 v207, v3
	v_mov_b32_e32 v83, v1
	v_pk_add_f32 v[78:79], v[206:207], v[208:209] neg_lo:[0,1] neg_hi:[0,1]
	v_pk_add_f32 v[198:199], v[82:83], v[212:213] neg_lo:[0,1] neg_hi:[0,1]
	s_nop 0
	v_pk_add_f32 v[198:199], v[78:79], v[198:199]
	; wave barrier
	ds_write2_b64 v225, v[116:117], v[122:123] offset1:5
	v_pk_add_f32 v[78:79], v[102:103], v[106:107]
	v_pk_add_f32 v[116:117], v[100:101], v[108:109] neg_lo:[0,1] neg_hi:[0,1]
	v_pk_fma_f32 v[78:79], v[78:79], 0.5, v[76:77] op_sel_hi:[1,0,1] neg_lo:[1,0,0] neg_hi:[1,0,0]
	v_pk_mul_f32 v[122:123], v[116:117], s[2:3] op_sel_hi:[1,0]
	v_pk_add_f32 v[220:221], v[102:103], v[106:107] neg_lo:[0,1] neg_hi:[0,1]
	v_pk_add_f32 v[228:229], v[100:101], v[102:103] neg_lo:[0,1] neg_hi:[0,1]
	;; [unrolled: 1-line block ×3, first 2 shown]
	v_pk_add_f32 v[0:1], v[208:209], v[212:213]
	v_pk_add_f32 v[228:229], v[228:229], v[230:231]
	v_pk_add_f32 v[230:231], v[78:79], v[122:123] op_sel:[0,1] op_sel_hi:[1,0]
	v_pk_add_f32 v[78:79], v[78:79], v[122:123] op_sel:[0,1] op_sel_hi:[1,0] neg_lo:[0,1] neg_hi:[0,1]
	v_pk_mul_f32 v[122:123], v[220:221], s[12:13] op_sel_hi:[1,0]
	v_pk_fma_f32 v[8:9], v[0:1], 0.5, v[72:73] op_sel_hi:[1,0,1] neg_lo:[1,0,0] neg_hi:[1,0,0]
	v_pk_add_f32 v[78:79], v[78:79], v[122:123] op_sel:[0,1] op_sel_hi:[1,0] neg_lo:[0,1] neg_hi:[0,1]
	v_pk_add_f32 v[122:123], v[230:231], v[122:123] op_sel:[0,1] op_sel_hi:[1,0]
	v_mov_b32_e32 v231, v79
	v_mov_b32_e32 v230, v122
	;; [unrolled: 1-line block ×3, first 2 shown]
	v_pk_fma_f32 v[230:231], v[228:229], s[14:15], v[230:231] op_sel_hi:[1,0,1]
	v_pk_fma_f32 v[228:229], v[228:229], s[14:15], v[78:79] op_sel_hi:[1,0,1]
	ds_write2_b64 v225, v[114:115], v[228:229] offset0:10 offset1:15
	v_pk_add_f32 v[114:115], v[100:101], v[108:109]
	v_pk_add_f32 v[100:101], v[102:103], v[100:101] neg_lo:[0,1] neg_hi:[0,1]
	v_pk_add_f32 v[102:103], v[106:107], v[108:109] neg_lo:[0,1] neg_hi:[0,1]
	v_pk_fma_f32 v[76:77], v[114:115], 0.5, v[76:77] op_sel_hi:[1,0,1] neg_lo:[1,0,0] neg_hi:[1,0,0]
	v_pk_add_f32 v[100:101], v[100:101], v[102:103]
	v_pk_mul_f32 v[102:103], v[220:221], s[2:3] op_sel_hi:[1,0]
	v_pk_mul_f32 v[106:107], v[116:117], s[12:13] op_sel_hi:[1,0]
	v_pk_add_f32 v[108:109], v[76:77], v[102:103] op_sel:[0,1] op_sel_hi:[1,0] neg_lo:[0,1] neg_hi:[0,1]
	v_pk_add_f32 v[76:77], v[76:77], v[102:103] op_sel:[0,1] op_sel_hi:[1,0]
	v_pk_add_f32 v[102:103], v[108:109], v[106:107] op_sel:[0,1] op_sel_hi:[1,0]
	v_pk_add_f32 v[76:77], v[76:77], v[106:107] op_sel:[0,1] op_sel_hi:[1,0] neg_lo:[0,1] neg_hi:[0,1]
	v_mov_b32_e32 v106, v102
	v_mov_b32_e32 v107, v77
	v_mov_b32_e32 v77, v103
	v_pk_fma_f32 v[76:77], v[100:101], s[14:15], v[76:77] op_sel_hi:[1,0,1]
	v_pk_fma_f32 v[106:107], v[100:101], s[14:15], v[106:107] op_sel_hi:[1,0,1]
	ds_write2_b64 v225, v[112:113], v[76:77] offset0:20 offset1:25
	ds_write2_b64 v225, v[110:111], v[106:107] offset0:30 offset1:35
	;; [unrolled: 1-line block ×3, first 2 shown]
	v_pk_add_f32 v[76:77], v[72:73], v[206:207]
	v_pk_add_f32 v[0:1], v[206:207], v[82:83] neg_lo:[0,1] neg_hi:[0,1]
	v_pk_add_f32 v[76:77], v[76:77], v[208:209]
	v_pk_add_f32 v[100:101], v[206:207], v[82:83]
	v_pk_add_f32 v[76:77], v[76:77], v[212:213]
	v_pk_add_f32 v[2:3], v[208:209], v[212:213] neg_lo:[0,1] neg_hi:[0,1]
	v_pk_fma_f32 v[122:123], v[0:1], s[2:3], v[8:9] op_sel:[1,0,0] op_sel_hi:[0,0,1]
	v_pk_fma_f32 v[8:9], v[0:1], s[2:3], v[8:9] op_sel:[1,0,0] op_sel_hi:[0,0,1] neg_lo:[1,0,0] neg_hi:[1,0,0]
	v_pk_add_f32 v[76:77], v[76:77], v[82:83]
	v_pk_fma_f32 v[72:73], v[100:101], 0.5, v[72:73] op_sel_hi:[1,0,1] neg_lo:[1,0,0] neg_hi:[1,0,0]
	v_pk_add_f32 v[100:101], v[208:209], v[206:207] neg_lo:[0,1] neg_hi:[0,1]
	v_pk_add_f32 v[82:83], v[212:213], v[82:83] neg_lo:[0,1] neg_hi:[0,1]
	v_pk_fma_f32 v[8:9], v[2:3], s[12:13], v[8:9] op_sel:[1,0,0] op_sel_hi:[0,0,1] neg_lo:[1,0,0] neg_hi:[1,0,0]
	v_pk_fma_f32 v[122:123], v[2:3], s[12:13], v[122:123] op_sel:[1,0,0] op_sel_hi:[0,0,1]
	v_pk_add_f32 v[82:83], v[100:101], v[82:83]
	v_pk_fma_f32 v[100:101], v[2:3], s[2:3], v[72:73] op_sel:[1,0,0] op_sel_hi:[0,0,1] neg_lo:[1,0,0] neg_hi:[1,0,0]
	v_pk_fma_f32 v[2:3], v[2:3], s[2:3], v[72:73] op_sel:[1,0,0] op_sel_hi:[0,0,1]
	v_pk_fma_f32 v[2:3], v[0:1], s[12:13], v[2:3] op_sel:[1,0,0] op_sel_hi:[0,0,1] neg_lo:[1,0,0] neg_hi:[1,0,0]
	v_pk_fma_f32 v[0:1], v[0:1], s[12:13], v[100:101] op_sel:[1,0,0] op_sel_hi:[0,0,1]
	v_mov_b32_e32 v73, v3
	v_mov_b32_e32 v3, v1
	;; [unrolled: 1-line block ×3, first 2 shown]
	v_pk_fma_f32 v[0:1], v[82:83], s[14:15], v[2:3] op_sel_hi:[1,0,1]
	v_pk_add_f32 v[2:3], v[74:75], v[96:97]
	v_mov_b32_e32 v89, v93
	v_pk_add_f32 v[2:3], v[2:3], v[52:53]
	v_pk_fma_f32 v[72:73], v[82:83], s[14:15], v[72:73] op_sel_hi:[1,0,1]
	v_pk_add_f32 v[2:3], v[2:3], v[54:55]
	v_mov_b32_e32 v79, v9
	v_pk_add_f32 v[2:3], v[2:3], v[84:85]
	ds_write2_b64 v225, v[76:77], v[2:3] offset0:50 offset1:55
	v_pk_fma_f32 v[2:3], v[80:81], s[14:15], v[88:89] op_sel_hi:[1,0,1]
	ds_write2_b64 v225, v[0:1], v[2:3] offset0:70 offset1:75
	ds_write2_b64 v225, v[72:73], v[130:131] offset0:80 offset1:85
	v_pk_add_f32 v[0:1], v[52:53], v[54:55]
	v_pk_add_f32 v[2:3], v[96:97], v[52:53] neg_lo:[0,1] neg_hi:[0,1]
	v_pk_fma_f32 v[0:1], v[0:1], 0.5, v[74:75] op_sel_hi:[1,0,1] neg_lo:[1,0,0] neg_hi:[1,0,0]
	v_pk_add_f32 v[52:53], v[84:85], v[54:55] neg_lo:[0,1] neg_hi:[0,1]
	v_mov_b32_e32 v9, v123
	v_pk_add_f32 v[2:3], v[2:3], v[52:53]
	v_pk_fma_f32 v[52:53], v[50:51], s[2:3], v[0:1] op_sel:[1,0,0] op_sel_hi:[0,0,1]
	v_pk_fma_f32 v[0:1], v[50:51], s[2:3], v[0:1] op_sel:[1,0,0] op_sel_hi:[0,0,1] neg_lo:[1,0,0] neg_hi:[1,0,0]
	v_pk_fma_f32 v[0:1], v[48:49], s[12:13], v[0:1] op_sel:[1,0,0] op_sel_hi:[0,0,1] neg_lo:[1,0,0] neg_hi:[1,0,0]
	v_pk_fma_f32 v[48:49], v[48:49], s[12:13], v[52:53] op_sel:[1,0,0] op_sel_hi:[0,0,1]
	v_mov_b32_e32 v51, v1
	v_mov_b32_e32 v1, v49
	;; [unrolled: 1-line block ×3, first 2 shown]
	v_pk_fma_f32 v[8:9], v[198:199], s[14:15], v[8:9] op_sel_hi:[1,0,1]
	v_mov_b32_e32 v50, v48
	v_pk_fma_f32 v[0:1], v[2:3], s[14:15], v[0:1] op_sel_hi:[1,0,1]
	v_pk_fma_f32 v[78:79], v[198:199], s[14:15], v[78:79] op_sel_hi:[1,0,1]
	;; [unrolled: 1-line block ×3, first 2 shown]
	ds_write2_b64 v225, v[8:9], v[0:1] offset0:60 offset1:65
	ds_write2_b64 v225, v[78:79], v[50:51] offset0:90 offset1:95
	v_pk_add_f32 v[0:1], v[12:13], v[126:127]
	v_mov_b32_e32 v87, v201
	v_pk_add_f32 v[0:1], v[0:1], v[128:129]
	v_pk_fma_f32 v[2:3], v[6:7], s[14:15], v[86:87] op_sel_hi:[1,0,1]
	v_pk_add_f32 v[0:1], v[0:1], v[132:133]
	v_pk_add_f32 v[6:7], v[132:133], v[202:203] neg_lo:[0,1] neg_hi:[0,1]
	v_pk_add_f32 v[0:1], v[0:1], v[202:203]
	ds_write2_b64 v143, v[0:1], v[2:3] offset0:100 offset1:110
	v_pk_add_f32 v[0:1], v[126:127], v[202:203]
	v_pk_add_f32 v[2:3], v[128:129], v[126:127] neg_lo:[0,1] neg_hi:[0,1]
	v_pk_fma_f32 v[0:1], v[0:1], 0.5, v[12:13] op_sel_hi:[1,0,1] neg_lo:[1,0,0] neg_hi:[1,0,0]
	v_pk_add_f32 v[2:3], v[2:3], v[6:7]
	v_pk_fma_f32 v[6:7], v[90:91], s[2:3], v[0:1] op_sel:[1,0,0] op_sel_hi:[0,0,1] neg_lo:[1,0,0] neg_hi:[1,0,0]
	v_pk_fma_f32 v[0:1], v[90:91], s[2:3], v[0:1] op_sel:[1,0,0] op_sel_hi:[0,0,1]
	v_pk_fma_f32 v[0:1], v[204:205], s[12:13], v[0:1] op_sel:[1,0,0] op_sel_hi:[0,0,1] neg_lo:[1,0,0] neg_hi:[1,0,0]
	v_pk_fma_f32 v[6:7], v[204:205], s[12:13], v[6:7] op_sel:[1,0,0] op_sel_hi:[0,0,1]
	v_mov_b32_e32 v8, v6
	v_mov_b32_e32 v9, v1
	;; [unrolled: 1-line block ×3, first 2 shown]
	v_pk_fma_f32 v[8:9], v[2:3], s[14:15], v[8:9] op_sel_hi:[1,0,1]
	v_pk_fma_f32 v[0:1], v[2:3], s[14:15], v[0:1] op_sel_hi:[1,0,1]
	ds_write2_b64 v143, v[0:1], v[8:9] offset0:120 offset1:130
	ds_write_b64 v143, v[4:5] offset:1120
	v_pk_add_f32 v[0:1], v[14:15], v[98:99]
	v_mov_b32_e32 v121, v125
	v_pk_add_f32 v[0:1], v[0:1], v[20:21]
	v_pk_fma_f32 v[2:3], v[118:119], s[14:15], v[120:121] op_sel_hi:[1,0,1]
	v_pk_add_f32 v[0:1], v[0:1], v[22:23]
	v_pk_add_f32 v[4:5], v[22:23], v[16:17] neg_lo:[0,1] neg_hi:[0,1]
	v_pk_add_f32 v[0:1], v[0:1], v[16:17]
	ds_write2_b64 v11, v[0:1], v[2:3] offset0:100 offset1:110
	v_pk_add_f32 v[0:1], v[98:99], v[16:17]
	v_pk_add_f32 v[2:3], v[20:21], v[98:99] neg_lo:[0,1] neg_hi:[0,1]
	v_pk_fma_f32 v[0:1], v[0:1], 0.5, v[14:15] op_sel_hi:[1,0,1] neg_lo:[1,0,0] neg_hi:[1,0,0]
	v_pk_add_f32 v[2:3], v[2:3], v[4:5]
	v_pk_fma_f32 v[4:5], v[136:137], s[2:3], v[0:1] op_sel:[1,0,0] op_sel_hi:[0,0,1] neg_lo:[1,0,0] neg_hi:[1,0,0]
	v_pk_fma_f32 v[0:1], v[136:137], s[2:3], v[0:1] op_sel:[1,0,0] op_sel_hi:[0,0,1]
	v_pk_fma_f32 v[0:1], v[134:135], s[12:13], v[0:1] op_sel:[1,0,0] op_sel_hi:[0,0,1] neg_lo:[1,0,0] neg_hi:[1,0,0]
	v_pk_fma_f32 v[4:5], v[134:135], s[12:13], v[4:5] op_sel:[1,0,0] op_sel_hi:[0,0,1]
	v_mov_b32_e32 v6, v4
	v_mov_b32_e32 v7, v1
	;; [unrolled: 1-line block ×3, first 2 shown]
	v_pk_fma_f32 v[6:7], v[2:3], s[14:15], v[6:7] op_sel_hi:[1,0,1]
	v_pk_fma_f32 v[0:1], v[2:3], s[14:15], v[0:1] op_sel_hi:[1,0,1]
	ds_write2_b64 v11, v[0:1], v[6:7] offset0:120 offset1:130
	ds_write_b64 v11, v[18:19] offset:1120
	s_waitcnt lgkmcnt(0)
	; wave barrier
	s_waitcnt lgkmcnt(0)
	ds_read2_b64 v[2:5], v225 offset0:50 offset1:55
	ds_read2_b64 v[18:21], v225 offset0:100 offset1:105
	;; [unrolled: 1-line block ×3, first 2 shown]
	v_mad_u64_u32 v[8:9], s[0:1], s6, v232, 0
	s_waitcnt lgkmcnt(2)
	v_pk_mul_f32 v[0:1], v[68:69], v[2:3] op_sel:[1,0]
	s_waitcnt lgkmcnt(1)
	v_pk_mul_f32 v[6:7], v[210:211], v[18:19] op_sel_hi:[0,1]
	v_pk_fma_f32 v[10:11], v[68:69], v[2:3], v[0:1] op_sel:[0,0,1] op_sel_hi:[1,1,0]
	v_pk_fma_f32 v[0:1], v[68:69], v[2:3], v[0:1] op_sel:[0,0,1] op_sel_hi:[0,1,0] neg_lo:[0,0,1] neg_hi:[0,0,1]
	v_mov_b32_e32 v11, v1
	ds_read2_b64 v[0:3], v225 offset1:5
	v_pk_fma_f32 v[14:15], v[70:71], v[18:19], v[6:7] op_sel:[0,0,1] op_sel_hi:[1,1,0]
	v_pk_fma_f32 v[6:7], v[70:71], v[18:19], v[6:7] op_sel:[0,0,1] op_sel_hi:[0,1,0] neg_lo:[0,0,1] neg_hi:[0,0,1]
	v_mov_b32_e32 v15, v7
	s_waitcnt lgkmcnt(1)
	v_pk_mul_f32 v[54:55], v[56:57], v[52:53] op_sel:[1,0]
	s_waitcnt lgkmcnt(0)
	v_pk_add_f32 v[6:7], v[0:1], v[10:11]
	s_nop 0
	v_pk_add_f32 v[12:13], v[6:7], v[14:15]
	v_pk_mul_f32 v[6:7], v[64:65], v[4:5] op_sel:[1,0]
	s_nop 0
	v_pk_fma_f32 v[16:17], v[64:65], v[4:5], v[6:7] op_sel:[0,0,1] op_sel_hi:[1,1,0]
	v_pk_fma_f32 v[4:5], v[64:65], v[4:5], v[6:7] op_sel:[0,0,1] op_sel_hi:[0,1,0] neg_lo:[0,0,1] neg_hi:[0,0,1]
	v_mov_b32_e32 v17, v5
	v_pk_mul_f32 v[4:5], v[218:219], v[20:21] op_sel_hi:[0,1]
	v_pk_fma_f32 v[18:19], v[66:67], v[20:21], v[4:5] op_sel:[0,0,1] op_sel_hi:[1,1,0]
	v_pk_fma_f32 v[4:5], v[66:67], v[20:21], v[4:5] op_sel:[0,0,1] op_sel_hi:[0,1,0] neg_lo:[0,0,1] neg_hi:[0,0,1]
	v_mov_b32_e32 v19, v5
	v_pk_add_f32 v[4:5], v[2:3], v[16:17]
	v_pk_mul_f32 v[20:21], v[60:61], v[50:51] op_sel:[1,0]
	v_pk_add_f32 v[48:49], v[4:5], v[18:19]
	ds_read2_b64 v[4:7], v225 offset0:10 offset1:15
	ds_read2_b64 v[64:67], v225 offset0:110 offset1:115
	v_pk_fma_f32 v[22:23], v[60:61], v[50:51], v[20:21] op_sel:[0,0,1] op_sel_hi:[1,1,0]
	v_pk_fma_f32 v[20:21], v[60:61], v[50:51], v[20:21] op_sel:[0,0,1] op_sel_hi:[0,1,0] neg_lo:[0,0,1] neg_hi:[0,0,1]
	v_pk_fma_f32 v[50:51], v[56:57], v[52:53], v[54:55] op_sel:[0,0,1] op_sel_hi:[1,1,0]
	v_pk_fma_f32 v[52:53], v[56:57], v[52:53], v[54:55] op_sel:[0,0,1] op_sel_hi:[0,1,0] neg_lo:[0,0,1] neg_hi:[0,0,1]
	v_mov_b32_e32 v52, v59
	v_mov_b32_e32 v23, v21
	s_waitcnt lgkmcnt(0)
	v_pk_mul_f32 v[20:21], v[214:215], v[64:65] op_sel_hi:[0,1]
	v_mov_b32_e32 v51, v53
	v_pk_mul_f32 v[52:53], v[52:53], v[66:67] op_sel_hi:[0,1]
	v_pk_fma_f32 v[68:69], v[62:63], v[64:65], v[20:21] op_sel:[0,0,1] op_sel_hi:[1,1,0]
	v_pk_fma_f32 v[20:21], v[62:63], v[64:65], v[20:21] op_sel:[0,0,1] op_sel_hi:[0,1,0] neg_lo:[0,0,1] neg_hi:[0,0,1]
	v_pk_fma_f32 v[64:65], v[58:59], v[66:67], v[52:53] op_sel:[0,0,1] op_sel_hi:[1,1,0]
	v_pk_fma_f32 v[52:53], v[58:59], v[66:67], v[52:53] op_sel:[0,0,1] op_sel_hi:[0,1,0] neg_lo:[0,0,1] neg_hi:[0,0,1]
	v_mov_b32_e32 v65, v53
	ds_read2_b64 v[52:55], v225 offset0:70 offset1:75
	v_pk_add_f32 v[56:57], v[6:7], v[50:51]
	v_mov_b32_e32 v69, v21
	v_pk_add_f32 v[66:67], v[56:57], v[64:65]
	ds_read2_b64 v[56:59], v225 offset0:20 offset1:25
	ds_read2_b64 v[60:63], v225 offset0:120 offset1:125
	s_waitcnt lgkmcnt(2)
	v_pk_mul_f32 v[70:71], v[44:45], v[52:53] op_sel:[1,0]
	v_pk_add_f32 v[20:21], v[4:5], v[22:23]
	v_pk_fma_f32 v[72:73], v[44:45], v[52:53], v[70:71] op_sel:[0,0,1] op_sel_hi:[1,1,0]
	v_pk_fma_f32 v[44:45], v[44:45], v[52:53], v[70:71] op_sel:[0,0,1] op_sel_hi:[0,1,0] neg_lo:[0,0,1] neg_hi:[0,0,1]
	v_mov_b32_e32 v44, v47
	v_mov_b32_e32 v73, v45
	s_waitcnt lgkmcnt(0)
	v_pk_mul_f32 v[44:45], v[44:45], v[60:61] op_sel_hi:[0,1]
	v_pk_fma_f32 v[70:71], v[46:47], v[60:61], v[44:45] op_sel:[0,0,1] op_sel_hi:[1,1,0]
	v_pk_fma_f32 v[44:45], v[46:47], v[60:61], v[44:45] op_sel:[0,0,1] op_sel_hi:[0,1,0] neg_lo:[0,0,1] neg_hi:[0,0,1]
	v_mov_b32_e32 v71, v45
	v_pk_add_f32 v[44:45], v[56:57], v[72:73]
	v_pk_add_f32 v[20:21], v[20:21], v[68:69]
	;; [unrolled: 1-line block ×3, first 2 shown]
	v_pk_mul_f32 v[44:45], v[40:41], v[54:55] op_sel:[1,0]
	s_nop 0
	v_pk_fma_f32 v[74:75], v[40:41], v[54:55], v[44:45] op_sel:[0,0,1] op_sel_hi:[1,1,0]
	v_pk_fma_f32 v[40:41], v[40:41], v[54:55], v[44:45] op_sel:[0,0,1] op_sel_hi:[0,1,0] neg_lo:[0,0,1] neg_hi:[0,0,1]
	v_mov_b32_e32 v75, v41
	v_pk_mul_f32 v[40:41], v[224:225], v[62:63] op_sel_hi:[0,1]
	v_pk_fma_f32 v[76:77], v[42:43], v[62:63], v[40:41] op_sel:[0,0,1] op_sel_hi:[1,1,0]
	v_pk_fma_f32 v[40:41], v[42:43], v[62:63], v[40:41] op_sel:[0,0,1] op_sel_hi:[0,1,0] neg_lo:[0,0,1] neg_hi:[0,0,1]
	v_mov_b32_e32 v77, v41
	ds_read2_b64 v[40:43], v225 offset0:80 offset1:85
	v_pk_add_f32 v[44:45], v[58:59], v[74:75]
	s_waitcnt lgkmcnt(0)
	v_pk_mul_f32 v[78:79], v[36:37], v[40:41] op_sel:[1,0]
	v_pk_add_f32 v[62:63], v[44:45], v[76:77]
	ds_read2_b64 v[44:47], v225 offset0:30 offset1:35
	ds_read2_b64 v[52:55], v225 offset0:130 offset1:135
	v_pk_fma_f32 v[80:81], v[36:37], v[40:41], v[78:79] op_sel:[0,0,1] op_sel_hi:[1,1,0]
	v_pk_fma_f32 v[36:37], v[36:37], v[40:41], v[78:79] op_sel:[0,0,1] op_sel_hi:[0,1,0] neg_lo:[0,0,1] neg_hi:[0,0,1]
	v_mov_b32_e32 v81, v37
	s_waitcnt lgkmcnt(0)
	v_pk_mul_f32 v[36:37], v[226:227], v[52:53] op_sel_hi:[0,1]
	v_pk_fma_f32 v[78:79], v[38:39], v[52:53], v[36:37] op_sel:[0,0,1] op_sel_hi:[1,1,0]
	v_pk_fma_f32 v[36:37], v[38:39], v[52:53], v[36:37] op_sel:[0,0,1] op_sel_hi:[0,1,0] neg_lo:[0,0,1] neg_hi:[0,0,1]
	v_mov_b32_e32 v79, v37
	v_pk_add_f32 v[36:37], v[44:45], v[80:81]
	s_nop 0
	v_pk_add_f32 v[52:53], v[36:37], v[78:79]
	v_pk_mul_f32 v[36:37], v[32:33], v[42:43] op_sel:[1,0]
	s_nop 0
	v_pk_fma_f32 v[82:83], v[32:33], v[42:43], v[36:37] op_sel:[0,0,1] op_sel_hi:[1,1,0]
	v_pk_fma_f32 v[32:33], v[32:33], v[42:43], v[36:37] op_sel:[0,0,1] op_sel_hi:[0,1,0] neg_lo:[0,0,1] neg_hi:[0,0,1]
	v_mov_b32_e32 v83, v33
	v_pk_mul_f32 v[32:33], v[250:251], v[54:55] op_sel_hi:[0,1]
	v_pk_fma_f32 v[84:85], v[34:35], v[54:55], v[32:33] op_sel:[0,0,1] op_sel_hi:[1,1,0]
	v_pk_fma_f32 v[32:33], v[34:35], v[54:55], v[32:33] op_sel:[0,0,1] op_sel_hi:[0,1,0] neg_lo:[0,0,1] neg_hi:[0,0,1]
	v_mov_b32_e32 v85, v33
	ds_read2_b64 v[32:35], v225 offset0:90 offset1:95
	ds_read2_b64 v[36:39], v225 offset0:40 offset1:45
	v_pk_add_f32 v[40:41], v[46:47], v[82:83]
	s_waitcnt lgkmcnt(1)
	v_pk_mul_f32 v[86:87], v[28:29], v[32:33] op_sel:[1,0]
	v_pk_add_f32 v[54:55], v[40:41], v[84:85]
	ds_read2_b64 v[40:43], v225 offset0:140 offset1:145
	v_pk_fma_f32 v[88:89], v[28:29], v[32:33], v[86:87] op_sel:[0,0,1] op_sel_hi:[1,1,0]
	v_pk_fma_f32 v[28:29], v[28:29], v[32:33], v[86:87] op_sel:[0,0,1] op_sel_hi:[0,1,0] neg_lo:[0,0,1] neg_hi:[0,0,1]
	v_accvgpr_read_b32 v28, a6
	v_mov_b32_e32 v89, v29
	s_waitcnt lgkmcnt(0)
	v_pk_mul_f32 v[28:29], v[28:29], v[40:41] op_sel_hi:[0,1]
	v_pk_fma_f32 v[32:33], v[30:31], v[40:41], v[28:29] op_sel:[0,0,1] op_sel_hi:[1,1,0]
	v_pk_fma_f32 v[28:29], v[30:31], v[40:41], v[28:29] op_sel:[0,0,1] op_sel_hi:[0,1,0] neg_lo:[0,0,1] neg_hi:[0,0,1]
	v_pk_mul_f32 v[30:31], v[24:25], v[34:35] op_sel:[1,0]
	v_mov_b32_e32 v33, v29
	v_pk_fma_f32 v[40:41], v[24:25], v[34:35], v[30:31] op_sel:[0,0,1] op_sel_hi:[1,1,0]
	v_pk_fma_f32 v[24:25], v[24:25], v[34:35], v[30:31] op_sel:[0,0,1] op_sel_hi:[0,1,0] neg_lo:[0,0,1] neg_hi:[0,0,1]
	v_mov_b32_e32 v41, v25
	v_pk_mul_f32 v[24:25], v[252:253], v[42:43] op_sel_hi:[0,1]
	v_pk_fma_f32 v[30:31], v[26:27], v[42:43], v[24:25] op_sel:[0,0,1] op_sel_hi:[1,1,0]
	v_pk_fma_f32 v[24:25], v[26:27], v[42:43], v[24:25] op_sel:[0,0,1] op_sel_hi:[0,1,0] neg_lo:[0,0,1] neg_hi:[0,0,1]
	v_pk_add_f32 v[26:27], v[10:11], v[14:15]
	v_pk_add_f32 v[10:11], v[10:11], v[14:15] neg_lo:[0,1] neg_hi:[0,1]
	v_pk_fma_f32 v[0:1], v[26:27], 0.5, v[0:1] op_sel_hi:[1,0,1] neg_lo:[1,0,0] neg_hi:[1,0,0]
	v_pk_mul_f32 v[10:11], v[10:11], s[10:11] op_sel_hi:[1,0]
	v_pk_add_f32 v[28:29], v[36:37], v[88:89]
	v_pk_add_f32 v[14:15], v[0:1], v[10:11] op_sel:[0,1] op_sel_hi:[1,0] neg_lo:[0,1] neg_hi:[0,1]
	v_pk_add_f32 v[0:1], v[0:1], v[10:11] op_sel:[0,1] op_sel_hi:[1,0]
	v_mov_b32_e32 v10, v14
	v_mov_b32_e32 v11, v1
	;; [unrolled: 1-line block ×3, first 2 shown]
	ds_write_b64 v225, v[10:11] offset:400
	ds_write_b64 v225, v[0:1] offset:800
	ds_write2_b64 v225, v[12:13], v[48:49] offset1:5
	v_pk_add_f32 v[0:1], v[16:17], v[18:19]
	v_mov_b32_e32 v31, v25
	v_pk_fma_f32 v[0:1], v[0:1], 0.5, v[2:3] op_sel_hi:[1,0,1] neg_lo:[1,0,0] neg_hi:[1,0,0]
	v_pk_add_f32 v[2:3], v[16:17], v[18:19] neg_lo:[0,1] neg_hi:[0,1]
	v_pk_add_f32 v[24:25], v[38:39], v[40:41]
	v_pk_mul_f32 v[2:3], v[2:3], s[10:11] op_sel_hi:[1,0]
	v_pk_add_f32 v[28:29], v[28:29], v[32:33]
	v_pk_add_f32 v[10:11], v[0:1], v[2:3] op_sel:[0,1] op_sel_hi:[1,0] neg_lo:[0,1] neg_hi:[0,1]
	v_pk_add_f32 v[0:1], v[0:1], v[2:3] op_sel:[0,1] op_sel_hi:[1,0]
	v_mov_b32_e32 v2, v10
	v_mov_b32_e32 v3, v1
	;; [unrolled: 1-line block ×3, first 2 shown]
	v_pk_add_f32 v[10:11], v[22:23], v[68:69]
	v_pk_add_f32 v[24:25], v[24:25], v[30:31]
	v_pk_fma_f32 v[4:5], v[10:11], 0.5, v[4:5] op_sel_hi:[1,0,1] neg_lo:[1,0,0] neg_hi:[1,0,0]
	v_pk_add_f32 v[10:11], v[22:23], v[68:69] neg_lo:[0,1] neg_hi:[0,1]
	s_nop 0
	v_pk_mul_f32 v[10:11], v[10:11], s[10:11] op_sel_hi:[1,0]
	s_nop 0
	v_pk_add_f32 v[12:13], v[4:5], v[10:11] op_sel:[0,1] op_sel_hi:[1,0] neg_lo:[0,1] neg_hi:[0,1]
	v_pk_add_f32 v[4:5], v[4:5], v[10:11] op_sel:[0,1] op_sel_hi:[1,0]
	v_mov_b32_e32 v10, v12
	v_mov_b32_e32 v11, v5
	v_mov_b32_e32 v5, v13
	ds_write2_b64 v225, v[2:3], v[10:11] offset0:55 offset1:60
	ds_write2_b64 v225, v[0:1], v[4:5] offset0:105 offset1:110
	ds_write2_b64 v225, v[20:21], v[66:67] offset0:10 offset1:15
	v_pk_add_f32 v[0:1], v[50:51], v[64:65]
	v_pk_add_f32 v[2:3], v[50:51], v[64:65] neg_lo:[0,1] neg_hi:[0,1]
	v_pk_fma_f32 v[0:1], v[0:1], 0.5, v[6:7] op_sel_hi:[1,0,1] neg_lo:[1,0,0] neg_hi:[1,0,0]
	v_pk_mul_f32 v[2:3], v[2:3], s[10:11] op_sel_hi:[1,0]
	v_pk_add_f32 v[6:7], v[72:73], v[70:71] neg_lo:[0,1] neg_hi:[0,1]
	v_pk_add_f32 v[4:5], v[0:1], v[2:3] op_sel:[0,1] op_sel_hi:[1,0] neg_lo:[0,1] neg_hi:[0,1]
	v_pk_add_f32 v[0:1], v[0:1], v[2:3] op_sel:[0,1] op_sel_hi:[1,0]
	v_mov_b32_e32 v2, v4
	v_mov_b32_e32 v3, v1
	v_mov_b32_e32 v1, v5
	v_pk_add_f32 v[4:5], v[72:73], v[70:71]
	v_pk_mul_f32 v[6:7], v[6:7], s[10:11] op_sel_hi:[1,0]
	v_pk_fma_f32 v[4:5], v[4:5], 0.5, v[56:57] op_sel_hi:[1,0,1] neg_lo:[1,0,0] neg_hi:[1,0,0]
	s_nop 0
	v_pk_add_f32 v[10:11], v[4:5], v[6:7] op_sel:[0,1] op_sel_hi:[1,0] neg_lo:[0,1] neg_hi:[0,1]
	v_pk_add_f32 v[4:5], v[4:5], v[6:7] op_sel:[0,1] op_sel_hi:[1,0]
	v_mov_b32_e32 v6, v10
	v_mov_b32_e32 v7, v5
	v_mov_b32_e32 v5, v11
	ds_write2_b64 v225, v[2:3], v[6:7] offset0:65 offset1:70
	ds_write2_b64 v225, v[0:1], v[4:5] offset0:115 offset1:120
	ds_write2_b64 v225, v[60:61], v[62:63] offset0:20 offset1:25
	v_pk_add_f32 v[0:1], v[74:75], v[76:77]
	v_pk_add_f32 v[2:3], v[74:75], v[76:77] neg_lo:[0,1] neg_hi:[0,1]
	v_pk_fma_f32 v[0:1], v[0:1], 0.5, v[58:59] op_sel_hi:[1,0,1] neg_lo:[1,0,0] neg_hi:[1,0,0]
	v_pk_mul_f32 v[2:3], v[2:3], s[10:11] op_sel_hi:[1,0]
	v_pk_add_f32 v[6:7], v[80:81], v[78:79] neg_lo:[0,1] neg_hi:[0,1]
	v_pk_add_f32 v[4:5], v[0:1], v[2:3] op_sel:[0,1] op_sel_hi:[1,0] neg_lo:[0,1] neg_hi:[0,1]
	v_pk_add_f32 v[0:1], v[0:1], v[2:3] op_sel:[0,1] op_sel_hi:[1,0]
	v_mov_b32_e32 v2, v4
	v_mov_b32_e32 v3, v1
	v_mov_b32_e32 v1, v5
	v_pk_add_f32 v[4:5], v[80:81], v[78:79]
	v_pk_mul_f32 v[6:7], v[6:7], s[10:11] op_sel_hi:[1,0]
	v_pk_fma_f32 v[4:5], v[4:5], 0.5, v[44:45] op_sel_hi:[1,0,1] neg_lo:[1,0,0] neg_hi:[1,0,0]
	;; [unrolled: 22-line block ×3, first 2 shown]
	v_mov_b32_e32 v33, 0xfffffbf0
	v_pk_add_f32 v[10:11], v[4:5], v[6:7] op_sel:[0,1] op_sel_hi:[1,0] neg_lo:[0,1] neg_hi:[0,1]
	v_pk_add_f32 v[4:5], v[4:5], v[6:7] op_sel:[0,1] op_sel_hi:[1,0]
	v_mov_b32_e32 v6, v10
	v_mov_b32_e32 v7, v5
	;; [unrolled: 1-line block ×3, first 2 shown]
	ds_write2_b64 v225, v[2:3], v[6:7] offset0:85 offset1:90
	ds_write2_b64 v225, v[0:1], v[4:5] offset0:135 offset1:140
	;; [unrolled: 1-line block ×3, first 2 shown]
	v_pk_add_f32 v[0:1], v[40:41], v[30:31]
	v_pk_add_f32 v[2:3], v[40:41], v[30:31] neg_lo:[0,1] neg_hi:[0,1]
	v_pk_fma_f32 v[0:1], v[0:1], 0.5, v[38:39] op_sel_hi:[1,0,1] neg_lo:[1,0,0] neg_hi:[1,0,0]
	v_pk_mul_f32 v[2:3], v[2:3], s[10:11] op_sel_hi:[1,0]
	v_mad_u64_u32 v[6:7], s[2:3], s4, v142, 0
	v_pk_add_f32 v[4:5], v[0:1], v[2:3] op_sel:[0,1] op_sel_hi:[1,0] neg_lo:[0,1] neg_hi:[0,1]
	v_pk_add_f32 v[0:1], v[0:1], v[2:3] op_sel:[0,1] op_sel_hi:[1,0]
	v_mov_b32_e32 v2, v4
	v_mov_b32_e32 v3, v1
	;; [unrolled: 1-line block ×3, first 2 shown]
	ds_write_b64 v225, v[2:3] offset:760
	ds_write_b64 v225, v[0:1] offset:1160
	s_waitcnt lgkmcnt(0)
	; wave barrier
	s_waitcnt lgkmcnt(0)
	ds_read2_b64 v[10:13], v225 offset1:5
	v_mov_b32_e32 v0, v9
	v_mad_u64_u32 v[0:1], s[0:1], s7, v232, v[0:1]
	v_mov_b32_e32 v9, v0
	s_waitcnt lgkmcnt(0)
	v_mul_f32_e32 v0, v159, v11
	v_fmac_f32_e32 v0, v158, v10
	s_mov_b32 s0, 0xb4e81b4f
	v_cvt_f64_f32_e32 v[0:1], v0
	s_mov_b32 s1, 0x3f7b4e81
	v_mul_f64 v[0:1], v[0:1], s[0:1]
	v_cvt_f32_f64_e32 v4, v[0:1]
	v_mul_f32_e32 v0, v159, v10
	v_fma_f32 v0, v158, v11, -v0
	v_cvt_f64_f32_e32 v[0:1], v0
	v_mul_f64 v[0:1], v[0:1], s[0:1]
	v_cvt_f32_f64_e32 v5, v[0:1]
	v_mov_b32_e32 v0, v7
	v_mad_u64_u32 v[10:11], s[2:3], s5, v142, v[0:1]
	ds_read2_b64 v[0:3], v225 offset0:10 offset1:15
	v_mov_b32_e32 v7, v10
	v_lshl_add_u64 v[30:31], v[8:9], 3, v[94:95]
	v_lshl_add_u64 v[6:7], v[6:7], 3, v[30:31]
	global_store_dwordx2 v[6:7], v[4:5], off
	s_waitcnt lgkmcnt(0)
	v_mul_f32_e32 v4, v157, v3
	ds_read2_b64 v[14:17], v225 offset0:30 offset1:35
	v_fmac_f32_e32 v4, v156, v2
	v_mul_f32_e32 v2, v157, v2
	v_fma_f32 v2, v156, v3, -v2
	v_cvt_f64_f32_e32 v[4:5], v4
	v_cvt_f64_f32_e32 v[2:3], v2
	v_mul_f64 v[4:5], v[4:5], s[0:1]
	v_mul_f64 v[2:3], v[2:3], s[0:1]
	v_cvt_f32_f64_e32 v4, v[4:5]
	v_cvt_f32_f64_e32 v5, v[2:3]
	s_waitcnt lgkmcnt(0)
	v_mul_f32_e32 v2, v149, v15
	v_fmac_f32_e32 v2, v148, v14
	v_cvt_f64_f32_e32 v[2:3], v2
	v_mul_f64 v[2:3], v[2:3], s[0:1]
	v_cvt_f32_f64_e32 v8, v[2:3]
	v_mul_f32_e32 v2, v149, v14
	v_mad_u64_u32 v[6:7], s[2:3], s4, v217, v[6:7]
	v_fma_f32 v2, v148, v15, -v2
	s_mul_i32 s2, s5, 0x78
	v_cvt_f64_f32_e32 v[2:3], v2
	v_add_u32_e32 v7, s2, v7
	v_mul_f64 v[2:3], v[2:3], s[0:1]
	global_store_dwordx2 v[6:7], v[4:5], off
	v_cvt_f32_f64_e32 v9, v[2:3]
	ds_read2_b64 v[2:5], v225 offset0:40 offset1:45
	v_mad_u64_u32 v[6:7], s[6:7], s4, v217, v[6:7]
	v_add_u32_e32 v7, s2, v7
	global_store_dwordx2 v[6:7], v[8:9], off
	s_waitcnt lgkmcnt(0)
	v_mul_f32_e32 v8, v147, v5
	ds_read2_b64 v[18:21], v225 offset0:60 offset1:65
	v_fmac_f32_e32 v8, v146, v4
	v_mul_f32_e32 v4, v147, v4
	v_fma_f32 v4, v146, v5, -v4
	v_cvt_f64_f32_e32 v[8:9], v8
	v_cvt_f64_f32_e32 v[4:5], v4
	v_mul_f64 v[8:9], v[8:9], s[0:1]
	v_mul_f64 v[4:5], v[4:5], s[0:1]
	v_cvt_f32_f64_e32 v8, v[8:9]
	v_cvt_f32_f64_e32 v9, v[4:5]
	s_waitcnt lgkmcnt(0)
	v_mul_f32_e32 v4, v141, v19
	v_fmac_f32_e32 v4, v140, v18
	v_mad_u64_u32 v[10:11], s[6:7], s4, v217, v[6:7]
	v_cvt_f64_f32_e32 v[4:5], v4
	v_add_u32_e32 v11, s2, v11
	v_mul_f64 v[4:5], v[4:5], s[0:1]
	global_store_dwordx2 v[10:11], v[8:9], off
	v_cvt_f32_f64_e32 v8, v[4:5]
	v_mul_f32_e32 v4, v141, v18
	v_fma_f32 v4, v140, v19, -v4
	v_cvt_f64_f32_e32 v[4:5], v4
	v_mul_f64 v[4:5], v[4:5], s[0:1]
	v_cvt_f32_f64_e32 v9, v[4:5]
	ds_read2_b64 v[4:7], v225 offset0:70 offset1:75
	v_mad_u64_u32 v[10:11], s[6:7], s4, v217, v[10:11]
	v_add_u32_e32 v11, s2, v11
	global_store_dwordx2 v[10:11], v[8:9], off
	s_waitcnt lgkmcnt(0)
	v_mul_f32_e32 v8, v139, v7
	ds_read2_b64 v[22:25], v225 offset0:90 offset1:95
	v_fmac_f32_e32 v8, v138, v6
	v_mul_f32_e32 v6, v139, v6
	v_fma_f32 v6, v138, v7, -v6
	v_cvt_f64_f32_e32 v[8:9], v8
	v_cvt_f64_f32_e32 v[6:7], v6
	v_mul_f64 v[8:9], v[8:9], s[0:1]
	v_mul_f64 v[6:7], v[6:7], s[0:1]
	v_cvt_f32_f64_e32 v8, v[8:9]
	v_cvt_f32_f64_e32 v9, v[6:7]
	s_waitcnt lgkmcnt(0)
	v_mul_f32_e32 v6, v223, v23
	v_fmac_f32_e32 v6, v222, v22
	v_cvt_f64_f32_e32 v[6:7], v6
	v_mul_f64 v[6:7], v[6:7], s[0:1]
	v_cvt_f32_f64_e32 v14, v[6:7]
	v_mul_f32_e32 v6, v223, v22
	v_fma_f32 v6, v222, v23, -v6
	v_mad_u64_u32 v[10:11], s[6:7], s4, v217, v[10:11]
	v_cvt_f64_f32_e32 v[6:7], v6
	v_add_u32_e32 v11, s2, v11
	v_mul_f64 v[6:7], v[6:7], s[0:1]
	global_store_dwordx2 v[10:11], v[8:9], off
	v_cvt_f32_f64_e32 v15, v[6:7]
	ds_read2_b64 v[6:9], v225 offset0:100 offset1:105
	v_mad_u64_u32 v[10:11], s[6:7], s4, v217, v[10:11]
	v_add_u32_e32 v11, s2, v11
	global_store_dwordx2 v[10:11], v[14:15], off
	s_waitcnt lgkmcnt(0)
	v_mul_f32_e32 v14, v155, v9
	ds_read2_b64 v[26:29], v225 offset0:120 offset1:125
	v_fmac_f32_e32 v14, v154, v8
	v_mul_f32_e32 v8, v155, v8
	v_fma_f32 v8, v154, v9, -v8
	v_cvt_f64_f32_e32 v[14:15], v14
	v_cvt_f64_f32_e32 v[8:9], v8
	v_mul_f64 v[14:15], v[14:15], s[0:1]
	v_mul_f64 v[8:9], v[8:9], s[0:1]
	v_cvt_f32_f64_e32 v14, v[14:15]
	v_cvt_f32_f64_e32 v15, v[8:9]
	s_waitcnt lgkmcnt(0)
	v_mul_f32_e32 v8, v151, v27
	v_fmac_f32_e32 v8, v150, v26
	v_mad_u64_u32 v[18:19], s[6:7], s4, v217, v[10:11]
	v_cvt_f64_f32_e32 v[8:9], v8
	v_add_u32_e32 v19, s2, v19
	v_mul_f64 v[8:9], v[8:9], s[0:1]
	global_store_dwordx2 v[18:19], v[14:15], off
	v_cvt_f32_f64_e32 v14, v[8:9]
	v_mul_f32_e32 v8, v151, v26
	v_fma_f32 v8, v150, v27, -v8
	v_cvt_f64_f32_e32 v[8:9], v8
	v_mul_f64 v[8:9], v[8:9], s[0:1]
	v_accvgpr_read_b32 v27, a0
	v_cvt_f32_f64_e32 v15, v[8:9]
	v_mad_u64_u32 v[22:23], s[6:7], s4, v27, 0
	ds_read2_b64 v[8:11], v225 offset0:130 offset1:135
	v_mov_b32_e32 v26, v23
	v_mad_u64_u32 v[26:27], s[6:7], s5, v27, v[26:27]
	v_mov_b32_e32 v23, v26
	v_lshl_add_u64 v[22:23], v[22:23], 3, v[30:31]
	global_store_dwordx2 v[22:23], v[14:15], off
	s_waitcnt lgkmcnt(0)
	v_mul_f32_e32 v14, v195, v11
	v_fmac_f32_e32 v14, v194, v10
	v_mul_f32_e32 v10, v195, v10
	v_fma_f32 v10, v194, v11, -v10
	v_cvt_f64_f32_e32 v[14:15], v14
	v_cvt_f64_f32_e32 v[10:11], v10
	v_mul_f64 v[14:15], v[14:15], s[0:1]
	v_mul_f64 v[10:11], v[10:11], s[0:1]
	v_mov_b32_e32 v26, 0xf0
	v_cvt_f32_f64_e32 v14, v[14:15]
	v_cvt_f32_f64_e32 v15, v[10:11]
	v_mad_u64_u32 v[10:11], s[6:7], s4, v26, v[18:19]
	s_mul_i32 s3, s5, 0xf0
	v_add_u32_e32 v11, s3, v11
	global_store_dwordx2 v[10:11], v[14:15], off
	v_mul_f32_e32 v14, v153, v13
	v_fmac_f32_e32 v14, v152, v12
	v_mul_f32_e32 v12, v153, v12
	v_fma_f32 v12, v152, v13, -v12
	v_cvt_f64_f32_e32 v[14:15], v14
	v_cvt_f64_f32_e32 v[12:13], v12
	v_mul_f64 v[14:15], v[14:15], s[0:1]
	v_mul_f64 v[12:13], v[12:13], s[0:1]
	v_cvt_f32_f64_e32 v14, v[14:15]
	v_cvt_f32_f64_e32 v15, v[12:13]
	v_mad_u64_u32 v[18:19], s[6:7], s4, v33, v[10:11]
	ds_read2_b64 v[10:13], v225 offset0:20 offset1:25
	s_mul_i32 s6, s5, 0xfffffbf0
	s_sub_i32 s6, s6, s4
	v_add_u32_e32 v19, s6, v19
	global_store_dwordx2 v[18:19], v[14:15], off
	s_waitcnt lgkmcnt(0)
	v_mul_f32_e32 v14, v145, v11
	v_fmac_f32_e32 v14, v144, v10
	v_mul_f32_e32 v10, v145, v10
	v_fma_f32 v10, v144, v11, -v10
	v_cvt_f64_f32_e32 v[14:15], v14
	v_cvt_f64_f32_e32 v[10:11], v10
	v_mul_f64 v[14:15], v[14:15], s[0:1]
	v_mul_f64 v[10:11], v[10:11], s[0:1]
	v_cvt_f32_f64_e32 v14, v[14:15]
	v_cvt_f32_f64_e32 v15, v[10:11]
	v_mad_u64_u32 v[10:11], s[8:9], s4, v217, v[18:19]
	v_add_u32_e32 v11, s2, v11
	global_store_dwordx2 v[10:11], v[14:15], off
	v_mul_f32_e32 v14, v163, v17
	v_fmac_f32_e32 v14, v162, v16
	v_cvt_f64_f32_e32 v[14:15], v14
	v_mul_f64 v[14:15], v[14:15], s[0:1]
	v_cvt_f32_f64_e32 v18, v[14:15]
	v_mul_f32_e32 v14, v163, v16
	v_fma_f32 v14, v162, v17, -v14
	v_cvt_f64_f32_e32 v[14:15], v14
	v_mul_f64 v[14:15], v[14:15], s[0:1]
	v_cvt_f32_f64_e32 v19, v[14:15]
	ds_read2_b64 v[14:17], v225 offset0:50 offset1:55
	v_mad_u64_u32 v[10:11], s[8:9], s4, v217, v[10:11]
	v_add_u32_e32 v11, s2, v11
	global_store_dwordx2 v[10:11], v[18:19], off
	s_waitcnt lgkmcnt(0)
	v_mul_f32_e32 v18, v177, v15
	v_fmac_f32_e32 v18, v176, v14
	v_mul_f32_e32 v14, v177, v14
	v_fma_f32 v14, v176, v15, -v14
	v_cvt_f64_f32_e32 v[18:19], v18
	v_cvt_f64_f32_e32 v[14:15], v14
	v_mul_f64 v[18:19], v[18:19], s[0:1]
	v_mul_f64 v[14:15], v[14:15], s[0:1]
	v_cvt_f32_f64_e32 v18, v[18:19]
	v_cvt_f32_f64_e32 v19, v[14:15]
	v_mul_f32_e32 v14, v183, v21
	v_fmac_f32_e32 v14, v182, v20
	v_cvt_f64_f32_e32 v[14:15], v14
	v_mul_f64 v[14:15], v[14:15], s[0:1]
	v_mad_u64_u32 v[10:11], s[8:9], s4, v217, v[10:11]
	v_cvt_f32_f64_e32 v14, v[14:15]
	v_mul_f32_e32 v15, v183, v20
	v_add_u32_e32 v11, s2, v11
	v_fma_f32 v15, v182, v21, -v15
	global_store_dwordx2 v[10:11], v[18:19], off
	v_cvt_f64_f32_e32 v[18:19], v15
	v_mul_f64 v[18:19], v[18:19], s[0:1]
	v_cvt_f32_f64_e32 v15, v[18:19]
	ds_read2_b64 v[18:21], v225 offset0:80 offset1:85
	v_mad_u64_u32 v[10:11], s[8:9], s4, v217, v[10:11]
	v_add_u32_e32 v11, s2, v11
	global_store_dwordx2 v[10:11], v[14:15], off
	s_waitcnt lgkmcnt(0)
	v_mul_f32_e32 v14, v189, v19
	v_fmac_f32_e32 v14, v188, v18
	v_cvt_f64_f32_e32 v[14:15], v14
	v_mul_f64 v[14:15], v[14:15], s[0:1]
	v_cvt_f32_f64_e32 v14, v[14:15]
	v_mul_f32_e32 v15, v189, v18
	v_fma_f32 v15, v188, v19, -v15
	v_cvt_f64_f32_e32 v[18:19], v15
	v_mul_f64 v[18:19], v[18:19], s[0:1]
	v_accvgpr_read_b32 v23, a1
	v_cvt_f32_f64_e32 v15, v[18:19]
	v_mad_u64_u32 v[18:19], s[8:9], s4, v23, 0
	v_mov_b32_e32 v22, v19
	v_mad_u64_u32 v[22:23], s[8:9], s5, v23, v[22:23]
	v_mov_b32_e32 v19, v22
	v_lshl_add_u64 v[18:19], v[18:19], 3, v[30:31]
	global_store_dwordx2 v[18:19], v[14:15], off
	v_mul_f32_e32 v14, v185, v25
	v_fmac_f32_e32 v14, v184, v24
	v_cvt_f64_f32_e32 v[14:15], v14
	v_mul_f64 v[14:15], v[14:15], s[0:1]
	v_cvt_f32_f64_e32 v14, v[14:15]
	v_mul_f32_e32 v15, v185, v24
	v_fma_f32 v15, v184, v25, -v15
	ds_read2_b64 v[22:25], v225 offset0:110 offset1:115
	v_cvt_f64_f32_e32 v[18:19], v15
	v_mul_f64 v[18:19], v[18:19], s[0:1]
	v_mad_u64_u32 v[10:11], s[8:9], s4, v26, v[10:11]
	v_cvt_f32_f64_e32 v15, v[18:19]
	v_add_u32_e32 v11, s3, v11
	global_store_dwordx2 v[10:11], v[14:15], off
	s_waitcnt lgkmcnt(0)
	v_mul_f32_e32 v14, v187, v23
	v_fmac_f32_e32 v14, v186, v22
	v_cvt_f64_f32_e32 v[14:15], v14
	v_mul_f64 v[14:15], v[14:15], s[0:1]
	v_cvt_f32_f64_e32 v14, v[14:15]
	v_mul_f32_e32 v15, v187, v22
	v_fma_f32 v15, v186, v23, -v15
	v_cvt_f64_f32_e32 v[18:19], v15
	v_mul_f64 v[18:19], v[18:19], s[0:1]
	v_mad_u64_u32 v[10:11], s[8:9], s4, v217, v[10:11]
	v_cvt_f32_f64_e32 v15, v[18:19]
	v_add_u32_e32 v11, s2, v11
	global_store_dwordx2 v[10:11], v[14:15], off
	v_mul_f32_e32 v14, v193, v29
	v_fmac_f32_e32 v14, v192, v28
	v_cvt_f64_f32_e32 v[14:15], v14
	v_mul_f64 v[14:15], v[14:15], s[0:1]
	v_cvt_f32_f64_e32 v14, v[14:15]
	v_mul_f32_e32 v15, v193, v28
	v_fma_f32 v15, v192, v29, -v15
	ds_read2_b64 v[26:29], v225 offset0:140 offset1:145
	v_cvt_f64_f32_e32 v[18:19], v15
	v_mul_f64 v[18:19], v[18:19], s[0:1]
	v_mad_u64_u32 v[10:11], s[8:9], s4, v217, v[10:11]
	v_cvt_f32_f64_e32 v15, v[18:19]
	v_add_u32_e32 v11, s2, v11
	global_store_dwordx2 v[10:11], v[14:15], off
	s_waitcnt lgkmcnt(0)
	v_mul_f32_e32 v14, v197, v27
	v_fmac_f32_e32 v14, v196, v26
	v_cvt_f64_f32_e32 v[14:15], v14
	v_mul_f64 v[14:15], v[14:15], s[0:1]
	v_cvt_f32_f64_e32 v14, v[14:15]
	v_mul_f32_e32 v15, v197, v26
	v_fma_f32 v15, v196, v27, -v15
	v_cvt_f64_f32_e32 v[18:19], v15
	v_mul_f64 v[18:19], v[18:19], s[0:1]
	v_mad_u64_u32 v[10:11], s[8:9], s4, v217, v[10:11]
	v_cvt_f32_f64_e32 v15, v[18:19]
	v_add_u32_e32 v11, s2, v11
	global_store_dwordx2 v[10:11], v[14:15], off
	v_mul_f32_e32 v14, v161, v1
	v_fmac_f32_e32 v14, v160, v0
	v_mul_f32_e32 v0, v161, v0
	v_fma_f32 v0, v160, v1, -v0
	v_cvt_f64_f32_e32 v[14:15], v14
	v_cvt_f64_f32_e32 v[0:1], v0
	v_mul_f64 v[14:15], v[14:15], s[0:1]
	v_mul_f64 v[0:1], v[0:1], s[0:1]
	v_cvt_f32_f64_e32 v14, v[14:15]
	v_cvt_f32_f64_e32 v15, v[0:1]
	v_mad_u64_u32 v[0:1], s[8:9], s4, v33, v[10:11]
	v_mul_f32_e32 v10, v165, v13
	v_fmac_f32_e32 v10, v164, v12
	v_cvt_f64_f32_e32 v[10:11], v10
	v_mul_f64 v[10:11], v[10:11], s[0:1]
	v_cvt_f32_f64_e32 v10, v[10:11]
	v_mul_f32_e32 v11, v165, v12
	v_fma_f32 v11, v164, v13, -v11
	v_add_u32_e32 v1, s6, v1
	v_cvt_f64_f32_e32 v[12:13], v11
	global_store_dwordx2 v[0:1], v[14:15], off
	v_mul_f64 v[12:13], v[12:13], s[0:1]
	v_mad_u64_u32 v[0:1], s[6:7], s4, v217, v[0:1]
	v_cvt_f32_f64_e32 v11, v[12:13]
	v_add_u32_e32 v1, s2, v1
	global_store_dwordx2 v[0:1], v[10:11], off
	v_mul_f32_e32 v10, v169, v3
	v_fmac_f32_e32 v10, v168, v2
	v_mul_f32_e32 v2, v169, v2
	v_fma_f32 v2, v168, v3, -v2
	v_cvt_f64_f32_e32 v[10:11], v10
	v_cvt_f64_f32_e32 v[2:3], v2
	v_mul_f64 v[10:11], v[10:11], s[0:1]
	v_mul_f64 v[2:3], v[2:3], s[0:1]
	v_mov_b32_e32 v13, v233
	v_cvt_f32_f64_e32 v10, v[10:11]
	v_cvt_f32_f64_e32 v11, v[2:3]
	v_mad_u64_u32 v[2:3], s[6:7], s4, v13, 0
	v_mov_b32_e32 v12, v3
	v_mad_u64_u32 v[12:13], s[6:7], s5, v13, v[12:13]
	v_mov_b32_e32 v3, v12
	v_lshl_add_u64 v[2:3], v[2:3], 3, v[30:31]
	global_store_dwordx2 v[2:3], v[10:11], off
	v_mul_f32_e32 v2, v167, v17
	v_fmac_f32_e32 v2, v166, v16
	v_cvt_f64_f32_e32 v[2:3], v2
	v_mul_f64 v[2:3], v[2:3], s[0:1]
	v_cvt_f32_f64_e32 v2, v[2:3]
	v_mul_f32_e32 v3, v167, v16
	v_fma_f32 v3, v166, v17, -v3
	v_mov_b32_e32 v32, 0xf0
	v_cvt_f64_f32_e32 v[10:11], v3
	v_mul_f64 v[10:11], v[10:11], s[0:1]
	v_mad_u64_u32 v[0:1], s[6:7], s4, v32, v[0:1]
	v_cvt_f32_f64_e32 v3, v[10:11]
	v_add_u32_e32 v1, s3, v1
	global_store_dwordx2 v[0:1], v[2:3], off
	v_mul_f32_e32 v2, v171, v5
	v_fmac_f32_e32 v2, v170, v4
	v_cvt_f64_f32_e32 v[2:3], v2
	v_mul_f64 v[2:3], v[2:3], s[0:1]
	v_cvt_f32_f64_e32 v2, v[2:3]
	v_mul_f32_e32 v3, v171, v4
	v_fma_f32 v3, v170, v5, -v3
	v_cvt_f64_f32_e32 v[4:5], v3
	v_mul_f64 v[4:5], v[4:5], s[0:1]
	v_mad_u64_u32 v[0:1], s[6:7], s4, v217, v[0:1]
	v_cvt_f32_f64_e32 v3, v[4:5]
	v_add_u32_e32 v1, s2, v1
	global_store_dwordx2 v[0:1], v[2:3], off
	v_mul_f32_e32 v2, v173, v21
	v_fmac_f32_e32 v2, v172, v20
	v_cvt_f64_f32_e32 v[2:3], v2
	v_mul_f64 v[2:3], v[2:3], s[0:1]
	v_cvt_f32_f64_e32 v2, v[2:3]
	v_mul_f32_e32 v3, v173, v20
	v_fma_f32 v3, v172, v21, -v3
	;; [unrolled: 13-line block ×6, first 2 shown]
	v_cvt_f64_f32_e32 v[4:5], v3
	v_mul_f64 v[4:5], v[4:5], s[0:1]
	v_mad_u64_u32 v[0:1], s[0:1], s4, v217, v[0:1]
	v_cvt_f32_f64_e32 v3, v[4:5]
	v_add_u32_e32 v1, s2, v1
	global_store_dwordx2 v[0:1], v[2:3], off
.LBB0_2:
	s_endpgm
	.section	.rodata,"a",@progbits
	.p2align	6, 0x0
	.amdhsa_kernel bluestein_single_back_len150_dim1_sp_op_CI_CI
		.amdhsa_group_segment_fixed_size 14400
		.amdhsa_private_segment_fixed_size 0
		.amdhsa_kernarg_size 104
		.amdhsa_user_sgpr_count 2
		.amdhsa_user_sgpr_dispatch_ptr 0
		.amdhsa_user_sgpr_queue_ptr 0
		.amdhsa_user_sgpr_kernarg_segment_ptr 1
		.amdhsa_user_sgpr_dispatch_id 0
		.amdhsa_user_sgpr_kernarg_preload_length 0
		.amdhsa_user_sgpr_kernarg_preload_offset 0
		.amdhsa_user_sgpr_private_segment_size 0
		.amdhsa_uses_dynamic_stack 0
		.amdhsa_enable_private_segment 0
		.amdhsa_system_sgpr_workgroup_id_x 1
		.amdhsa_system_sgpr_workgroup_id_y 0
		.amdhsa_system_sgpr_workgroup_id_z 0
		.amdhsa_system_sgpr_workgroup_info 0
		.amdhsa_system_vgpr_workitem_id 0
		.amdhsa_next_free_vgpr 263
		.amdhsa_next_free_sgpr 24
		.amdhsa_accum_offset 256
		.amdhsa_reserve_vcc 1
		.amdhsa_float_round_mode_32 0
		.amdhsa_float_round_mode_16_64 0
		.amdhsa_float_denorm_mode_32 3
		.amdhsa_float_denorm_mode_16_64 3
		.amdhsa_dx10_clamp 1
		.amdhsa_ieee_mode 1
		.amdhsa_fp16_overflow 0
		.amdhsa_tg_split 0
		.amdhsa_exception_fp_ieee_invalid_op 0
		.amdhsa_exception_fp_denorm_src 0
		.amdhsa_exception_fp_ieee_div_zero 0
		.amdhsa_exception_fp_ieee_overflow 0
		.amdhsa_exception_fp_ieee_underflow 0
		.amdhsa_exception_fp_ieee_inexact 0
		.amdhsa_exception_int_div_zero 0
	.end_amdhsa_kernel
	.text
.Lfunc_end0:
	.size	bluestein_single_back_len150_dim1_sp_op_CI_CI, .Lfunc_end0-bluestein_single_back_len150_dim1_sp_op_CI_CI
                                        ; -- End function
	.section	.AMDGPU.csdata,"",@progbits
; Kernel info:
; codeLenInByte = 20036
; NumSgprs: 30
; NumVgprs: 256
; NumAgprs: 7
; TotalNumVgprs: 263
; ScratchSize: 0
; MemoryBound: 0
; FloatMode: 240
; IeeeMode: 1
; LDSByteSize: 14400 bytes/workgroup (compile time only)
; SGPRBlocks: 3
; VGPRBlocks: 32
; NumSGPRsForWavesPerEU: 30
; NumVGPRsForWavesPerEU: 263
; AccumOffset: 256
; Occupancy: 1
; WaveLimiterHint : 1
; COMPUTE_PGM_RSRC2:SCRATCH_EN: 0
; COMPUTE_PGM_RSRC2:USER_SGPR: 2
; COMPUTE_PGM_RSRC2:TRAP_HANDLER: 0
; COMPUTE_PGM_RSRC2:TGID_X_EN: 1
; COMPUTE_PGM_RSRC2:TGID_Y_EN: 0
; COMPUTE_PGM_RSRC2:TGID_Z_EN: 0
; COMPUTE_PGM_RSRC2:TIDIG_COMP_CNT: 0
; COMPUTE_PGM_RSRC3_GFX90A:ACCUM_OFFSET: 63
; COMPUTE_PGM_RSRC3_GFX90A:TG_SPLIT: 0
	.text
	.p2alignl 6, 3212836864
	.fill 256, 4, 3212836864
	.type	__hip_cuid_bf46d6ba401bc36b,@object ; @__hip_cuid_bf46d6ba401bc36b
	.section	.bss,"aw",@nobits
	.globl	__hip_cuid_bf46d6ba401bc36b
__hip_cuid_bf46d6ba401bc36b:
	.byte	0                               ; 0x0
	.size	__hip_cuid_bf46d6ba401bc36b, 1

	.ident	"AMD clang version 19.0.0git (https://github.com/RadeonOpenCompute/llvm-project roc-6.4.0 25133 c7fe45cf4b819c5991fe208aaa96edf142730f1d)"
	.section	".note.GNU-stack","",@progbits
	.addrsig
	.addrsig_sym __hip_cuid_bf46d6ba401bc36b
	.amdgpu_metadata
---
amdhsa.kernels:
  - .agpr_count:     7
    .args:
      - .actual_access:  read_only
        .address_space:  global
        .offset:         0
        .size:           8
        .value_kind:     global_buffer
      - .actual_access:  read_only
        .address_space:  global
        .offset:         8
        .size:           8
        .value_kind:     global_buffer
      - .actual_access:  read_only
        .address_space:  global
        .offset:         16
        .size:           8
        .value_kind:     global_buffer
      - .actual_access:  read_only
        .address_space:  global
        .offset:         24
        .size:           8
        .value_kind:     global_buffer
      - .actual_access:  read_only
        .address_space:  global
        .offset:         32
        .size:           8
        .value_kind:     global_buffer
      - .offset:         40
        .size:           8
        .value_kind:     by_value
      - .address_space:  global
        .offset:         48
        .size:           8
        .value_kind:     global_buffer
      - .address_space:  global
        .offset:         56
        .size:           8
        .value_kind:     global_buffer
      - .address_space:  global
        .offset:         64
        .size:           8
        .value_kind:     global_buffer
      - .address_space:  global
        .offset:         72
        .size:           8
        .value_kind:     global_buffer
      - .offset:         80
        .size:           4
        .value_kind:     by_value
      - .address_space:  global
        .offset:         88
        .size:           8
        .value_kind:     global_buffer
      - .address_space:  global
        .offset:         96
        .size:           8
        .value_kind:     global_buffer
    .group_segment_fixed_size: 14400
    .kernarg_segment_align: 8
    .kernarg_segment_size: 104
    .language:       OpenCL C
    .language_version:
      - 2
      - 0
    .max_flat_workgroup_size: 60
    .name:           bluestein_single_back_len150_dim1_sp_op_CI_CI
    .private_segment_fixed_size: 0
    .sgpr_count:     30
    .sgpr_spill_count: 0
    .symbol:         bluestein_single_back_len150_dim1_sp_op_CI_CI.kd
    .uniform_work_group_size: 1
    .uses_dynamic_stack: false
    .vgpr_count:     263
    .vgpr_spill_count: 0
    .wavefront_size: 64
amdhsa.target:   amdgcn-amd-amdhsa--gfx950
amdhsa.version:
  - 1
  - 2
...

	.end_amdgpu_metadata
